;; amdgpu-corpus repo=zjin-lcf/HeCBench kind=compiled arch=gfx906 opt=O3
	.amdgcn_target "amdgcn-amd-amdhsa--gfx906"
	.amdhsa_code_object_version 6
	.text
	.protected	_Z14lrn_fwd_kernelPKfPflllllllllfff ; -- Begin function _Z14lrn_fwd_kernelPKfPflllllllllfff
	.globl	_Z14lrn_fwd_kernelPKfPflllllllllfff
	.p2align	8
	.type	_Z14lrn_fwd_kernelPKfPflllllllllfff,@function
_Z14lrn_fwd_kernelPKfPflllllllllfff:    ; @_Z14lrn_fwd_kernelPKfPflllllllllfff
; %bb.0:
	s_load_dword s2, s[4:5], 0x74
	s_load_dwordx4 s[16:19], s[4:5], 0x48
	s_add_u32 s0, s4, 0x68
	s_addc_u32 s1, s5, 0
	v_mov_b32_e32 v2, 0
	s_waitcnt lgkmcnt(0)
	s_and_b32 s2, s2, 0xffff
	s_mul_i32 s6, s6, s2
	v_add_u32_e32 v0, s6, v0
	v_mov_b32_e32 v1, v2
	v_cmp_gt_i64_e32 vcc, s[16:17], v[0:1]
	s_and_saveexec_b64 s[6:7], vcc
	s_cbranch_execz .LBB0_31
; %bb.1:
	s_load_dwordx8 s[8:15], s[4:5], 0x10
	s_load_dwordx4 s[20:23], s[4:5], 0x30
	s_load_dword s33, s[4:5], 0x58
	s_load_dword s36, s[4:5], 0x60
	s_mov_b32 s44, 0xf800000
	v_mov_b32_e32 v19, 0x260
	s_waitcnt lgkmcnt(0)
	s_mul_i32 s3, s14, s21
	s_mul_hi_u32 s6, s14, s20
	s_add_i32 s3, s6, s3
	s_mul_i32 s6, s15, s20
	s_mul_i32 s24, s14, s20
	s_add_i32 s25, s3, s6
	s_load_dword s3, s[0:1], 0x0
	s_mul_i32 s0, s24, s13
	s_mul_hi_u32 s1, s24, s12
	s_add_i32 s0, s1, s0
	s_mul_i32 s1, s25, s12
	s_mul_i32 s38, s24, s12
	s_add_i32 s37, s0, s1
	s_mul_i32 s1, s38, s11
	s_mul_hi_u32 s6, s38, s10
	s_mul_i32 s0, s37, s10
	s_add_i32 s1, s6, s1
	s_add_i32 s39, s1, s0
	s_add_u32 s0, s18, -1
	s_addc_u32 s1, s19, -1
	s_lshr_b32 s6, s1, 31
	s_add_u32 s0, s0, s6
	s_addc_u32 s1, s1, 0
	s_ashr_i64 s[12:13], s[0:1], 1
	s_add_u32 s40, s12, 1
	s_addc_u32 s41, s13, 0
	s_xor_b32 s1, s18, s19
	s_flbit_i32 s0, s19
	s_ashr_i32 s1, s1, 31
	s_add_i32 s0, s0, -1
	s_add_i32 s1, s1, 32
	s_min_u32 s26, s0, s1
	s_lshl_b64 s[0:1], s[18:19], s26
	s_min_u32 s0, s0, 1
	s_or_b32 s0, s1, s0
	v_cvt_f32_i32_e32 v3, s0
	s_load_dwordx4 s[4:7], s[4:5], 0x0
	s_sub_i32 s0, 32, s26
	s_mul_i32 s42, s38, s10
	v_ldexp_f32 v18, v3, s0
	s_waitcnt lgkmcnt(0)
	s_mul_i32 s43, s3, s2
	s_lshl_b64 s[18:19], s[22:23], 2
	s_lshl_b64 s[24:25], s[24:25], 2
	s_mov_b64 s[26:27], 0
	s_ashr_i32 s28, s39, 31
	s_branch .LBB0_3
.LBB0_2:                                ;   in Loop: Header=BB0_3 Depth=1
	s_or_b64 exec, exec, s[2:3]
	v_mul_f32_e32 v12, s33, v3
	v_div_scale_f32 v3, s[0:1], v18, v18, v12
	v_div_scale_f32 v13, vcc, v12, v18, v12
	v_mad_u64_u32 v[10:11], s[0:1], v6, s14, v[10:11]
	v_mul_lo_u32 v6, v6, s15
	v_mul_lo_u32 v7, v7, s14
	;; [unrolled: 1-line block ×5, first 2 shown]
	v_mad_u64_u32 v[8:9], s[0:1], v8, s20, 0
	v_add3_u32 v7, v7, v11, v6
	v_mul_lo_u32 v11, v10, s21
	v_add3_u32 v9, v9, v16, v14
	v_rcp_f32_e32 v15, v3
	v_fma_f32 v17, -v3, v15, 1.0
	v_fmac_f32_e32 v15, v17, v15
	v_mul_f32_e32 v17, v13, v15
	v_fma_f32 v20, -v3, v17, v13
	v_fmac_f32_e32 v17, v20, v15
	v_fma_f32 v13, -v3, v17, v13
	v_div_fmas_f32 v13, v13, v15, v17
	v_mul_lo_u32 v20, v4, s23
	v_mad_u64_u32 v[3:4], s[0:1], v4, s22, 0
	v_mov_b32_e32 v15, s5
	v_add3_u32 v4, v4, v20, v5
	v_mad_u64_u32 v[5:6], s[0:1], v10, s20, 0
	v_mul_lo_u32 v10, v7, s20
	v_sub_co_u32_e32 v7, vcc, v0, v8
	v_lshlrev_b64 v[3:4], 2, v[3:4]
	v_subb_co_u32_e32 v8, vcc, v1, v9, vcc
	v_add3_u32 v6, v6, v11, v10
	v_div_fixup_f32 v9, v13, v18, v12
	v_add_f32_e32 v11, s36, v9
	v_add_co_u32_e32 v9, vcc, s4, v3
	v_lshlrev_b64 v[7:8], 2, v[7:8]
	v_addc_co_u32_e32 v10, vcc, v15, v4, vcc
	v_lshlrev_b64 v[5:6], 2, v[5:6]
	v_add_co_u32_e32 v9, vcc, v9, v7
	v_addc_co_u32_e32 v10, vcc, v10, v8, vcc
	v_add_co_u32_e64 v9, s[0:1], v9, v5
	v_addc_co_u32_e64 v10, s[0:1], v10, v6, s[0:1]
	global_load_dword v9, v[9:10], off
	v_mul_f32_e32 v12, 0x4f800000, v11
	v_cmp_gt_f32_e32 vcc, s44, v11
	v_cndmask_b32_e32 v12, v11, v12, vcc
	v_sqrt_f32_e32 v13, v12
	v_add_u32_e32 v10, -1, v13
	v_fma_f32 v14, -v10, v13, v12
	v_cmp_ge_f32_e64 s[0:1], 0, v14
	v_add_u32_e32 v14, 1, v13
	v_cndmask_b32_e64 v10, v13, v10, s[0:1]
	v_fma_f32 v13, -v14, v13, v12
	v_cmp_lt_f32_e64 s[0:1], 0, v13
	v_cndmask_b32_e64 v10, v10, v14, s[0:1]
	v_mul_f32_e32 v13, 0x37800000, v10
	v_cndmask_b32_e32 v10, v10, v13, vcc
	v_cmp_class_f32_e32 vcc, v12, v19
	v_cndmask_b32_e32 v10, v10, v12, vcc
	v_mul_f32_e32 v10, v11, v10
	v_div_scale_f32 v11, s[0:1], v10, v10, 1.0
	v_div_scale_f32 v12, vcc, 1.0, v10, 1.0
	v_rcp_f32_e32 v13, v11
	v_fma_f32 v14, -v11, v13, 1.0
	v_fmac_f32_e32 v13, v14, v13
	v_mul_f32_e32 v14, v12, v13
	v_fma_f32 v15, -v11, v14, v12
	v_fmac_f32_e32 v14, v15, v13
	v_fma_f32 v11, -v11, v14, v12
	v_div_fmas_f32 v11, v11, v13, v14
	v_mov_b32_e32 v12, s7
	v_add_co_u32_e32 v3, vcc, s6, v3
	v_addc_co_u32_e32 v4, vcc, v12, v4, vcc
	v_add_co_u32_e64 v3, s[0:1], v3, v7
	v_addc_co_u32_e64 v4, s[0:1], v4, v8, s[0:1]
	v_div_fixup_f32 v10, v11, v10, 1.0
	v_mul_f32_e32 v11, 0x4f800000, v10
	v_cmp_gt_f32_e32 vcc, s44, v10
	v_cndmask_b32_e32 v10, v10, v11, vcc
	v_sqrt_f32_e32 v11, v10
	v_add_u32_e32 v7, -1, v11
	v_add_u32_e32 v8, 1, v11
	v_fma_f32 v12, -v7, v11, v10
	v_fma_f32 v13, -v8, v11, v10
	v_cmp_ge_f32_e64 s[0:1], 0, v12
	v_cndmask_b32_e64 v7, v11, v7, s[0:1]
	v_cmp_lt_f32_e64 s[0:1], 0, v13
	v_cndmask_b32_e64 v7, v7, v8, s[0:1]
	v_mul_f32_e32 v8, 0x37800000, v7
	v_cndmask_b32_e32 v7, v7, v8, vcc
	v_cmp_class_f32_e32 vcc, v10, v19
	v_cndmask_b32_e32 v7, v7, v10, vcc
	v_add_co_u32_e32 v0, vcc, s43, v0
	v_addc_co_u32_e32 v1, vcc, 0, v1, vcc
	v_cmp_le_i64_e32 vcc, s[16:17], v[0:1]
	v_add_co_u32_e64 v3, s[0:1], v3, v5
	s_waitcnt vmcnt(0)
	v_mul_f32_e32 v7, v9, v7
	v_addc_co_u32_e64 v4, s[0:1], v4, v6, s[0:1]
	s_or_b64 s[26:27], vcc, s[26:27]
	global_store_dword v[3:4], v7, off
	s_andn2_b64 exec, exec, s[26:27]
	s_cbranch_execz .LBB0_31
.LBB0_3:                                ; =>This Loop Header: Depth=1
                                        ;     Child Loop BB0_29 Depth 2
	v_or_b32_e32 v3, s39, v1
	v_cmp_ne_u64_e32 vcc, 0, v[2:3]
	v_ashrrev_i32_e32 v10, 31, v1
                                        ; implicit-def: $vgpr6_vgpr7
	s_and_saveexec_b64 s[0:1], vcc
	s_xor_b64 s[2:3], exec, s[0:1]
	s_cbranch_execz .LBB0_5
; %bb.4:                                ;   in Loop: Header=BB0_3 Depth=1
	s_add_u32 s0, s42, s28
	s_mov_b32 s29, s28
	s_addc_u32 s1, s39, s28
	s_xor_b64 s[30:31], s[0:1], s[28:29]
	v_cvt_f32_u32_e32 v3, s30
	v_cvt_f32_u32_e32 v4, s31
	s_sub_u32 s29, 0, s30
	s_subb_u32 s34, 0, s31
	v_mac_f32_e32 v3, 0x4f800000, v4
	v_rcp_f32_e32 v3, v3
	v_mul_f32_e32 v3, 0x5f7ffffc, v3
	v_mul_f32_e32 v4, 0x2f800000, v3
	v_trunc_f32_e32 v4, v4
	v_mac_f32_e32 v3, 0xcf800000, v4
	v_cvt_u32_f32_e32 v4, v4
	v_cvt_u32_f32_e32 v3, v3
	v_readfirstlane_b32 s35, v4
	v_readfirstlane_b32 s0, v3
	s_mul_i32 s1, s29, s35
	s_mul_hi_u32 s46, s29, s0
	s_mul_i32 s45, s34, s0
	s_add_i32 s1, s46, s1
	s_add_i32 s1, s1, s45
	s_mul_i32 s47, s29, s0
	s_mul_i32 s46, s0, s1
	s_mul_hi_u32 s48, s0, s47
	s_mul_hi_u32 s45, s0, s1
	s_add_u32 s46, s48, s46
	s_addc_u32 s45, 0, s45
	s_mul_hi_u32 s49, s35, s47
	s_mul_i32 s47, s35, s47
	s_add_u32 s46, s46, s47
	s_mul_hi_u32 s48, s35, s1
	s_addc_u32 s45, s45, s49
	s_addc_u32 s46, s48, 0
	s_mul_i32 s1, s35, s1
	s_add_u32 s1, s45, s1
	s_addc_u32 s45, 0, s46
	s_add_u32 s46, s0, s1
	s_cselect_b64 s[0:1], -1, 0
	s_cmp_lg_u64 s[0:1], 0
	s_addc_u32 s35, s35, s45
	s_mul_i32 s0, s29, s35
	s_mul_hi_u32 s1, s29, s46
	s_add_i32 s0, s1, s0
	s_mul_i32 s34, s34, s46
	s_add_i32 s0, s0, s34
	s_mul_i32 s29, s29, s46
	s_mul_hi_u32 s34, s35, s29
	s_mul_i32 s45, s35, s29
	s_mul_i32 s48, s46, s0
	s_mul_hi_u32 s29, s46, s29
	s_mul_hi_u32 s47, s46, s0
	s_add_u32 s29, s29, s48
	s_addc_u32 s47, 0, s47
	s_add_u32 s29, s29, s45
	s_mul_hi_u32 s1, s35, s0
	s_addc_u32 s29, s47, s34
	s_addc_u32 s1, s1, 0
	s_mul_i32 s0, s35, s0
	s_add_u32 s0, s29, s0
	s_addc_u32 s29, 0, s1
	s_add_u32 s34, s46, s0
	s_cselect_b64 s[0:1], -1, 0
	s_cmp_lg_u64 s[0:1], 0
	v_add_co_u32_e32 v3, vcc, v0, v10
	s_addc_u32 s29, s35, s29
	v_xor_b32_e32 v7, v3, v10
	v_mad_u64_u32 v[3:4], s[0:1], v7, s29, 0
	v_mul_hi_u32 v6, v7, s34
	v_addc_co_u32_e32 v5, vcc, v1, v10, vcc
	v_xor_b32_e32 v8, v5, v10
	v_add_co_u32_e32 v9, vcc, v6, v3
	v_addc_co_u32_e32 v11, vcc, 0, v4, vcc
	v_mad_u64_u32 v[3:4], s[0:1], v8, s34, 0
	v_mad_u64_u32 v[5:6], s[0:1], v8, s29, 0
	v_add_co_u32_e32 v3, vcc, v9, v3
	v_addc_co_u32_e32 v3, vcc, v11, v4, vcc
	v_addc_co_u32_e32 v4, vcc, 0, v6, vcc
	v_add_co_u32_e32 v5, vcc, v3, v5
	v_addc_co_u32_e32 v6, vcc, 0, v4, vcc
	v_mul_lo_u32 v9, s31, v5
	v_mul_lo_u32 v11, s30, v6
	v_mad_u64_u32 v[3:4], s[0:1], s30, v5, 0
	v_add3_u32 v4, v4, v11, v9
	v_sub_u32_e32 v9, v8, v4
	v_mov_b32_e32 v11, s31
	v_sub_co_u32_e32 v3, vcc, v7, v3
	v_subb_co_u32_e64 v7, s[0:1], v9, v11, vcc
	v_subrev_co_u32_e64 v9, s[0:1], s30, v3
	v_subbrev_co_u32_e64 v7, s[0:1], 0, v7, s[0:1]
	v_cmp_le_u32_e64 s[0:1], s31, v7
	v_cndmask_b32_e64 v11, 0, -1, s[0:1]
	v_cmp_le_u32_e64 s[0:1], s30, v9
	v_cndmask_b32_e64 v9, 0, -1, s[0:1]
	v_cmp_eq_u32_e64 s[0:1], s31, v7
	v_cndmask_b32_e64 v7, v11, v9, s[0:1]
	v_add_co_u32_e64 v9, s[0:1], 2, v5
	v_subb_co_u32_e32 v4, vcc, v8, v4, vcc
	v_addc_co_u32_e64 v11, s[0:1], 0, v6, s[0:1]
	v_cmp_le_u32_e32 vcc, s31, v4
	v_add_co_u32_e64 v12, s[0:1], 1, v5
	v_cndmask_b32_e64 v8, 0, -1, vcc
	v_cmp_le_u32_e32 vcc, s30, v3
	v_addc_co_u32_e64 v13, s[0:1], 0, v6, s[0:1]
	v_cndmask_b32_e64 v3, 0, -1, vcc
	v_cmp_eq_u32_e32 vcc, s31, v4
	v_cmp_ne_u32_e64 s[0:1], 0, v7
	v_cndmask_b32_e32 v3, v8, v3, vcc
	v_cmp_ne_u32_e32 vcc, 0, v3
	v_cndmask_b32_e64 v4, v12, v9, s[0:1]
	v_cndmask_b32_e64 v7, v13, v11, s[0:1]
	v_cndmask_b32_e32 v4, v5, v4, vcc
	v_xor_b32_e32 v5, s28, v10
	v_cndmask_b32_e32 v3, v6, v7, vcc
	v_xor_b32_e32 v4, v4, v5
	v_xor_b32_e32 v3, v3, v5
	v_sub_co_u32_e32 v6, vcc, v4, v5
	v_subb_co_u32_e32 v7, vcc, v3, v5, vcc
.LBB0_5:                                ;   in Loop: Header=BB0_3 Depth=1
	s_andn2_saveexec_b64 s[0:1], s[2:3]
	s_cbranch_execz .LBB0_7
; %bb.6:                                ;   in Loop: Header=BB0_3 Depth=1
	v_cvt_f32_u32_e32 v3, s42
	s_sub_i32 s2, 0, s42
	v_mov_b32_e32 v7, v2
	v_rcp_iflag_f32_e32 v3, v3
	v_mul_f32_e32 v3, 0x4f7ffffe, v3
	v_cvt_u32_f32_e32 v3, v3
	v_mul_lo_u32 v4, s2, v3
	v_mul_hi_u32 v4, v3, v4
	v_add_u32_e32 v3, v3, v4
	v_mul_hi_u32 v3, v0, v3
	v_mul_lo_u32 v4, v3, s42
	v_add_u32_e32 v5, 1, v3
	v_sub_u32_e32 v4, v0, v4
	v_subrev_u32_e32 v6, s42, v4
	v_cmp_le_u32_e32 vcc, s42, v4
	v_cndmask_b32_e32 v4, v4, v6, vcc
	v_cndmask_b32_e32 v3, v3, v5, vcc
	v_add_u32_e32 v5, 1, v3
	v_cmp_le_u32_e32 vcc, s42, v4
	v_cndmask_b32_e32 v6, v3, v5, vcc
.LBB0_7:                                ;   in Loop: Header=BB0_3 Depth=1
	s_or_b64 exec, exec, s[0:1]
	v_or_b32_e32 v3, s9, v7
	v_cmp_ne_u64_e32 vcc, 0, v[2:3]
                                        ; implicit-def: $vgpr4_vgpr5
	s_and_saveexec_b64 s[0:1], vcc
	s_xor_b64 s[30:31], exec, s[0:1]
	s_cbranch_execz .LBB0_9
; %bb.8:                                ;   in Loop: Header=BB0_3 Depth=1
	s_ashr_i32 s0, s9, 31
	s_add_u32 s2, s8, s0
	s_mov_b32 s1, s0
	s_addc_u32 s3, s9, s0
	s_xor_b64 s[34:35], s[2:3], s[0:1]
	v_cvt_f32_u32_e32 v3, s34
	v_cvt_f32_u32_e32 v4, s35
	s_sub_u32 s2, 0, s34
	s_subb_u32 s3, 0, s35
	v_ashrrev_i32_e32 v8, 31, v7
	v_mac_f32_e32 v3, 0x4f800000, v4
	v_rcp_f32_e32 v3, v3
	v_mul_f32_e32 v3, 0x5f7ffffc, v3
	v_mul_f32_e32 v4, 0x2f800000, v3
	v_trunc_f32_e32 v4, v4
	v_mac_f32_e32 v3, 0xcf800000, v4
	v_cvt_u32_f32_e32 v4, v4
	v_cvt_u32_f32_e32 v3, v3
	v_readfirstlane_b32 s29, v4
	v_readfirstlane_b32 s0, v3
	s_mul_i32 s1, s2, s29
	s_mul_hi_u32 s46, s2, s0
	s_mul_i32 s45, s3, s0
	s_add_i32 s1, s46, s1
	s_add_i32 s1, s1, s45
	s_mul_i32 s47, s2, s0
	s_mul_i32 s46, s0, s1
	s_mul_hi_u32 s48, s0, s47
	s_mul_hi_u32 s45, s0, s1
	s_add_u32 s46, s48, s46
	s_addc_u32 s45, 0, s45
	s_mul_hi_u32 s49, s29, s47
	s_mul_i32 s47, s29, s47
	s_add_u32 s46, s46, s47
	s_mul_hi_u32 s48, s29, s1
	s_addc_u32 s45, s45, s49
	s_addc_u32 s46, s48, 0
	s_mul_i32 s1, s29, s1
	s_add_u32 s1, s45, s1
	s_addc_u32 s45, 0, s46
	s_add_u32 s46, s0, s1
	s_cselect_b64 s[0:1], -1, 0
	s_cmp_lg_u64 s[0:1], 0
	s_addc_u32 s29, s29, s45
	s_mul_i32 s0, s2, s29
	s_mul_hi_u32 s1, s2, s46
	s_add_i32 s0, s1, s0
	s_mul_i32 s3, s3, s46
	s_add_i32 s0, s0, s3
	s_mul_i32 s2, s2, s46
	s_mul_hi_u32 s3, s29, s2
	s_mul_i32 s45, s29, s2
	s_mul_i32 s48, s46, s0
	s_mul_hi_u32 s2, s46, s2
	s_mul_hi_u32 s47, s46, s0
	s_add_u32 s2, s2, s48
	s_addc_u32 s47, 0, s47
	s_add_u32 s2, s2, s45
	s_mul_hi_u32 s1, s29, s0
	s_addc_u32 s2, s47, s3
	s_addc_u32 s1, s1, 0
	s_mul_i32 s0, s29, s0
	s_add_u32 s0, s2, s0
	s_addc_u32 s2, 0, s1
	s_add_u32 s3, s46, s0
	s_cselect_b64 s[0:1], -1, 0
	s_cmp_lg_u64 s[0:1], 0
	v_add_co_u32_e32 v3, vcc, v6, v8
	s_addc_u32 s2, s29, s2
	v_addc_co_u32_e32 v5, vcc, v7, v8, vcc
	v_xor_b32_e32 v7, v3, v8
	v_mad_u64_u32 v[3:4], s[0:1], v7, s2, 0
	v_mul_hi_u32 v6, v7, s3
	v_xor_b32_e32 v9, v5, v8
	v_add_co_u32_e32 v11, vcc, v6, v3
	v_addc_co_u32_e32 v12, vcc, 0, v4, vcc
	v_mad_u64_u32 v[3:4], s[0:1], v9, s3, 0
	v_mad_u64_u32 v[5:6], s[0:1], v9, s2, 0
	v_add_co_u32_e32 v3, vcc, v11, v3
	v_addc_co_u32_e32 v3, vcc, v12, v4, vcc
	v_addc_co_u32_e32 v4, vcc, 0, v6, vcc
	v_add_co_u32_e32 v3, vcc, v3, v5
	v_addc_co_u32_e32 v4, vcc, 0, v4, vcc
	v_mul_lo_u32 v5, s35, v3
	v_mul_lo_u32 v6, s34, v4
	v_mad_u64_u32 v[3:4], s[0:1], s34, v3, 0
	v_add3_u32 v4, v4, v6, v5
	v_sub_u32_e32 v5, v9, v4
	v_mov_b32_e32 v6, s35
	v_sub_co_u32_e32 v3, vcc, v7, v3
	v_subb_co_u32_e64 v5, s[0:1], v5, v6, vcc
	v_subrev_co_u32_e64 v7, s[0:1], s34, v3
	v_subbrev_co_u32_e64 v11, s[2:3], 0, v5, s[0:1]
	v_cmp_le_u32_e64 s[2:3], s35, v11
	v_cndmask_b32_e64 v12, 0, -1, s[2:3]
	v_cmp_le_u32_e64 s[2:3], s34, v7
	v_subb_co_u32_e64 v5, s[0:1], v5, v6, s[0:1]
	v_cndmask_b32_e64 v13, 0, -1, s[2:3]
	v_cmp_eq_u32_e64 s[2:3], s35, v11
	v_subrev_co_u32_e64 v6, s[0:1], s34, v7
	v_subb_co_u32_e32 v4, vcc, v9, v4, vcc
	v_cndmask_b32_e64 v12, v12, v13, s[2:3]
	v_subbrev_co_u32_e64 v5, s[0:1], 0, v5, s[0:1]
	v_cmp_le_u32_e32 vcc, s35, v4
	v_cmp_ne_u32_e64 s[0:1], 0, v12
	v_cndmask_b32_e64 v9, 0, -1, vcc
	v_cmp_le_u32_e32 vcc, s34, v3
	v_cndmask_b32_e64 v5, v11, v5, s[0:1]
	v_cndmask_b32_e64 v11, 0, -1, vcc
	v_cmp_eq_u32_e32 vcc, s35, v4
	v_cndmask_b32_e32 v9, v9, v11, vcc
	v_cmp_ne_u32_e32 vcc, 0, v9
	v_cndmask_b32_e32 v4, v4, v5, vcc
	v_cndmask_b32_e64 v5, v7, v6, s[0:1]
	v_cndmask_b32_e32 v3, v3, v5, vcc
	v_xor_b32_e32 v3, v3, v8
	v_xor_b32_e32 v5, v4, v8
	v_sub_co_u32_e32 v4, vcc, v3, v8
	v_subb_co_u32_e32 v5, vcc, v5, v8, vcc
                                        ; implicit-def: $vgpr6_vgpr7
.LBB0_9:                                ;   in Loop: Header=BB0_3 Depth=1
	s_andn2_saveexec_b64 s[0:1], s[30:31]
	s_cbranch_execz .LBB0_11
; %bb.10:                               ;   in Loop: Header=BB0_3 Depth=1
	v_cvt_f32_u32_e32 v3, s8
	s_sub_i32 s2, 0, s8
	v_mov_b32_e32 v5, v2
	v_rcp_iflag_f32_e32 v3, v3
	v_mul_f32_e32 v3, 0x4f7ffffe, v3
	v_cvt_u32_f32_e32 v3, v3
	v_mul_lo_u32 v4, s2, v3
	v_mul_hi_u32 v4, v3, v4
	v_add_u32_e32 v3, v3, v4
	v_mul_hi_u32 v3, v6, v3
	v_mul_lo_u32 v3, v3, s8
	v_sub_u32_e32 v3, v6, v3
	v_subrev_u32_e32 v4, s8, v3
	v_cmp_le_u32_e32 vcc, s8, v3
	v_cndmask_b32_e32 v3, v3, v4, vcc
	v_subrev_u32_e32 v4, s8, v3
	v_cmp_le_u32_e32 vcc, s8, v3
	v_cndmask_b32_e32 v4, v3, v4, vcc
.LBB0_11:                               ;   in Loop: Header=BB0_3 Depth=1
	s_or_b64 exec, exec, s[0:1]
	v_or_b32_e32 v3, s37, v1
	v_cmp_ne_u64_e32 vcc, 0, v[2:3]
                                        ; implicit-def: $vgpr8_vgpr9
	s_and_saveexec_b64 s[0:1], vcc
	s_xor_b64 s[2:3], exec, s[0:1]
	s_cbranch_execz .LBB0_13
; %bb.12:                               ;   in Loop: Header=BB0_3 Depth=1
	s_ashr_i32 s30, s37, 31
	s_add_u32 s0, s38, s30
	s_mov_b32 s31, s30
	s_addc_u32 s1, s37, s30
	s_xor_b64 s[34:35], s[0:1], s[30:31]
	v_cvt_f32_u32_e32 v3, s34
	v_cvt_f32_u32_e32 v6, s35
	s_sub_u32 s29, 0, s34
	s_subb_u32 s31, 0, s35
	v_mac_f32_e32 v3, 0x4f800000, v6
	v_rcp_f32_e32 v3, v3
	v_mul_f32_e32 v3, 0x5f7ffffc, v3
	v_mul_f32_e32 v6, 0x2f800000, v3
	v_trunc_f32_e32 v6, v6
	v_mac_f32_e32 v3, 0xcf800000, v6
	v_cvt_u32_f32_e32 v6, v6
	v_cvt_u32_f32_e32 v3, v3
	v_readfirstlane_b32 s45, v6
	v_readfirstlane_b32 s0, v3
	s_mul_i32 s1, s29, s45
	s_mul_hi_u32 s47, s29, s0
	s_mul_i32 s46, s31, s0
	s_add_i32 s1, s47, s1
	s_add_i32 s1, s1, s46
	s_mul_i32 s48, s29, s0
	s_mul_i32 s47, s0, s1
	s_mul_hi_u32 s49, s0, s48
	s_mul_hi_u32 s46, s0, s1
	s_add_u32 s47, s49, s47
	s_addc_u32 s46, 0, s46
	s_mul_hi_u32 s50, s45, s48
	s_mul_i32 s48, s45, s48
	s_add_u32 s47, s47, s48
	s_mul_hi_u32 s49, s45, s1
	s_addc_u32 s46, s46, s50
	s_addc_u32 s47, s49, 0
	s_mul_i32 s1, s45, s1
	s_add_u32 s1, s46, s1
	s_addc_u32 s46, 0, s47
	s_add_u32 s47, s0, s1
	s_cselect_b64 s[0:1], -1, 0
	s_cmp_lg_u64 s[0:1], 0
	s_addc_u32 s45, s45, s46
	s_mul_i32 s0, s29, s45
	s_mul_hi_u32 s1, s29, s47
	s_add_i32 s0, s1, s0
	s_mul_i32 s31, s31, s47
	s_add_i32 s0, s0, s31
	s_mul_i32 s29, s29, s47
	s_mul_hi_u32 s31, s45, s29
	s_mul_i32 s46, s45, s29
	s_mul_i32 s49, s47, s0
	s_mul_hi_u32 s29, s47, s29
	s_mul_hi_u32 s48, s47, s0
	s_add_u32 s29, s29, s49
	s_addc_u32 s48, 0, s48
	s_add_u32 s29, s29, s46
	s_mul_hi_u32 s1, s45, s0
	s_addc_u32 s29, s48, s31
	s_addc_u32 s1, s1, 0
	s_mul_i32 s0, s45, s0
	s_add_u32 s0, s29, s0
	s_addc_u32 s29, 0, s1
	s_add_u32 s31, s47, s0
	s_cselect_b64 s[0:1], -1, 0
	s_cmp_lg_u64 s[0:1], 0
	v_add_co_u32_e32 v3, vcc, v0, v10
	s_addc_u32 s29, s45, s29
	v_xor_b32_e32 v3, v3, v10
	v_mad_u64_u32 v[6:7], s[0:1], v3, s29, 0
	v_mul_hi_u32 v9, v3, s31
	v_addc_co_u32_e32 v8, vcc, v1, v10, vcc
	v_xor_b32_e32 v11, v8, v10
	v_add_co_u32_e32 v12, vcc, v9, v6
	v_addc_co_u32_e32 v13, vcc, 0, v7, vcc
	v_mad_u64_u32 v[6:7], s[0:1], v11, s31, 0
	v_mad_u64_u32 v[8:9], s[0:1], v11, s29, 0
	v_add_co_u32_e32 v6, vcc, v12, v6
	v_addc_co_u32_e32 v6, vcc, v13, v7, vcc
	v_addc_co_u32_e32 v7, vcc, 0, v9, vcc
	v_add_co_u32_e32 v8, vcc, v6, v8
	v_addc_co_u32_e32 v9, vcc, 0, v7, vcc
	v_mul_lo_u32 v12, s35, v8
	v_mul_lo_u32 v13, s34, v9
	v_mad_u64_u32 v[6:7], s[0:1], s34, v8, 0
	v_add3_u32 v7, v7, v13, v12
	v_sub_u32_e32 v12, v11, v7
	v_mov_b32_e32 v13, s35
	v_sub_co_u32_e32 v3, vcc, v3, v6
	v_subb_co_u32_e64 v6, s[0:1], v12, v13, vcc
	v_subrev_co_u32_e64 v12, s[0:1], s34, v3
	v_subbrev_co_u32_e64 v6, s[0:1], 0, v6, s[0:1]
	v_cmp_le_u32_e64 s[0:1], s35, v6
	v_cndmask_b32_e64 v13, 0, -1, s[0:1]
	v_cmp_le_u32_e64 s[0:1], s34, v12
	v_cndmask_b32_e64 v12, 0, -1, s[0:1]
	v_cmp_eq_u32_e64 s[0:1], s35, v6
	v_cndmask_b32_e64 v6, v13, v12, s[0:1]
	v_add_co_u32_e64 v12, s[0:1], 2, v8
	v_subb_co_u32_e32 v7, vcc, v11, v7, vcc
	v_addc_co_u32_e64 v13, s[0:1], 0, v9, s[0:1]
	v_cmp_le_u32_e32 vcc, s35, v7
	v_add_co_u32_e64 v14, s[0:1], 1, v8
	v_cndmask_b32_e64 v11, 0, -1, vcc
	v_cmp_le_u32_e32 vcc, s34, v3
	v_addc_co_u32_e64 v15, s[0:1], 0, v9, s[0:1]
	v_cndmask_b32_e64 v3, 0, -1, vcc
	v_cmp_eq_u32_e32 vcc, s35, v7
	v_cmp_ne_u32_e64 s[0:1], 0, v6
	v_cndmask_b32_e32 v3, v11, v3, vcc
	v_cndmask_b32_e64 v6, v15, v13, s[0:1]
	v_cmp_ne_u32_e32 vcc, 0, v3
	v_cndmask_b32_e32 v3, v9, v6, vcc
	v_cndmask_b32_e64 v6, v14, v12, s[0:1]
	v_cndmask_b32_e32 v6, v8, v6, vcc
	v_xor_b32_e32 v7, s30, v10
	v_xor_b32_e32 v6, v6, v7
	;; [unrolled: 1-line block ×3, first 2 shown]
	v_sub_co_u32_e32 v8, vcc, v6, v7
	v_subb_co_u32_e32 v9, vcc, v3, v7, vcc
.LBB0_13:                               ;   in Loop: Header=BB0_3 Depth=1
	s_andn2_saveexec_b64 s[0:1], s[2:3]
	s_cbranch_execz .LBB0_15
; %bb.14:                               ;   in Loop: Header=BB0_3 Depth=1
	v_cvt_f32_u32_e32 v3, s38
	s_sub_i32 s2, 0, s38
	v_mov_b32_e32 v9, v2
	v_rcp_iflag_f32_e32 v3, v3
	v_mul_f32_e32 v3, 0x4f7ffffe, v3
	v_cvt_u32_f32_e32 v3, v3
	v_mul_lo_u32 v6, s2, v3
	v_mul_hi_u32 v6, v3, v6
	v_add_u32_e32 v3, v3, v6
	v_mul_hi_u32 v3, v0, v3
	v_mul_lo_u32 v6, v3, s38
	v_add_u32_e32 v7, 1, v3
	v_sub_u32_e32 v6, v0, v6
	v_subrev_u32_e32 v8, s38, v6
	v_cmp_le_u32_e32 vcc, s38, v6
	v_cndmask_b32_e32 v6, v6, v8, vcc
	v_cndmask_b32_e32 v3, v3, v7, vcc
	v_add_u32_e32 v7, 1, v3
	v_cmp_le_u32_e32 vcc, s38, v6
	v_cndmask_b32_e32 v8, v3, v7, vcc
.LBB0_15:                               ;   in Loop: Header=BB0_3 Depth=1
	s_or_b64 exec, exec, s[0:1]
	v_or_b32_e32 v3, s11, v9
	v_cmp_ne_u64_e32 vcc, 0, v[2:3]
                                        ; implicit-def: $vgpr6_vgpr7
	s_and_saveexec_b64 s[0:1], vcc
	s_xor_b64 s[30:31], exec, s[0:1]
	s_cbranch_execz .LBB0_17
; %bb.16:                               ;   in Loop: Header=BB0_3 Depth=1
	s_ashr_i32 s0, s11, 31
	s_add_u32 s2, s10, s0
	s_mov_b32 s1, s0
	s_addc_u32 s3, s11, s0
	s_xor_b64 s[34:35], s[2:3], s[0:1]
	v_cvt_f32_u32_e32 v3, s34
	v_cvt_f32_u32_e32 v6, s35
	s_sub_u32 s2, 0, s34
	s_subb_u32 s3, 0, s35
	v_mac_f32_e32 v3, 0x4f800000, v6
	v_rcp_f32_e32 v3, v3
	v_mul_f32_e32 v3, 0x5f7ffffc, v3
	v_mul_f32_e32 v6, 0x2f800000, v3
	v_trunc_f32_e32 v6, v6
	v_mac_f32_e32 v3, 0xcf800000, v6
	v_cvt_u32_f32_e32 v6, v6
	v_cvt_u32_f32_e32 v3, v3
	v_readfirstlane_b32 s29, v6
	v_readfirstlane_b32 s0, v3
	s_mul_i32 s1, s2, s29
	s_mul_hi_u32 s46, s2, s0
	s_mul_i32 s45, s3, s0
	s_add_i32 s1, s46, s1
	s_add_i32 s1, s1, s45
	s_mul_i32 s47, s2, s0
	s_mul_i32 s46, s0, s1
	s_mul_hi_u32 s48, s0, s47
	s_mul_hi_u32 s45, s0, s1
	s_add_u32 s46, s48, s46
	s_addc_u32 s45, 0, s45
	s_mul_hi_u32 s49, s29, s47
	s_mul_i32 s47, s29, s47
	s_add_u32 s46, s46, s47
	s_mul_hi_u32 s48, s29, s1
	s_addc_u32 s45, s45, s49
	s_addc_u32 s46, s48, 0
	s_mul_i32 s1, s29, s1
	s_add_u32 s1, s45, s1
	s_addc_u32 s45, 0, s46
	s_add_u32 s46, s0, s1
	s_cselect_b64 s[0:1], -1, 0
	s_cmp_lg_u64 s[0:1], 0
	s_addc_u32 s29, s29, s45
	s_mul_i32 s0, s2, s29
	s_mul_hi_u32 s1, s2, s46
	s_add_i32 s0, s1, s0
	s_mul_i32 s3, s3, s46
	s_add_i32 s0, s0, s3
	s_mul_i32 s2, s2, s46
	s_mul_hi_u32 s3, s29, s2
	s_mul_i32 s45, s29, s2
	s_mul_i32 s48, s46, s0
	s_mul_hi_u32 s2, s46, s2
	s_mul_hi_u32 s47, s46, s0
	s_add_u32 s2, s2, s48
	s_addc_u32 s47, 0, s47
	s_add_u32 s2, s2, s45
	s_mul_hi_u32 s1, s29, s0
	s_addc_u32 s2, s47, s3
	s_addc_u32 s1, s1, 0
	s_mul_i32 s0, s29, s0
	s_add_u32 s0, s2, s0
	s_addc_u32 s2, 0, s1
	s_add_u32 s3, s46, s0
	s_cselect_b64 s[0:1], -1, 0
	v_ashrrev_i32_e32 v3, 31, v9
	s_cmp_lg_u64 s[0:1], 0
	v_add_co_u32_e32 v6, vcc, v8, v3
	s_addc_u32 s2, s29, s2
	v_xor_b32_e32 v11, v6, v3
	v_addc_co_u32_e32 v8, vcc, v9, v3, vcc
	v_mad_u64_u32 v[6:7], s[0:1], v11, s2, 0
	v_mul_hi_u32 v9, v11, s3
	v_xor_b32_e32 v12, v8, v3
	v_add_co_u32_e32 v13, vcc, v9, v6
	v_addc_co_u32_e32 v14, vcc, 0, v7, vcc
	v_mad_u64_u32 v[6:7], s[0:1], v12, s3, 0
	v_mad_u64_u32 v[8:9], s[0:1], v12, s2, 0
	v_add_co_u32_e32 v6, vcc, v13, v6
	v_addc_co_u32_e32 v6, vcc, v14, v7, vcc
	v_addc_co_u32_e32 v7, vcc, 0, v9, vcc
	v_add_co_u32_e32 v6, vcc, v6, v8
	v_addc_co_u32_e32 v7, vcc, 0, v7, vcc
	v_mul_lo_u32 v8, s35, v6
	v_mul_lo_u32 v9, s34, v7
	v_mad_u64_u32 v[6:7], s[0:1], s34, v6, 0
	v_add3_u32 v7, v7, v9, v8
	v_sub_u32_e32 v8, v12, v7
	v_mov_b32_e32 v9, s35
	v_sub_co_u32_e32 v6, vcc, v11, v6
	v_subb_co_u32_e64 v8, s[0:1], v8, v9, vcc
	v_subrev_co_u32_e64 v11, s[0:1], s34, v6
	v_subbrev_co_u32_e64 v13, s[2:3], 0, v8, s[0:1]
	v_cmp_le_u32_e64 s[2:3], s35, v13
	v_cndmask_b32_e64 v14, 0, -1, s[2:3]
	v_cmp_le_u32_e64 s[2:3], s34, v11
	v_subb_co_u32_e64 v8, s[0:1], v8, v9, s[0:1]
	v_cndmask_b32_e64 v15, 0, -1, s[2:3]
	v_cmp_eq_u32_e64 s[2:3], s35, v13
	v_subrev_co_u32_e64 v9, s[0:1], s34, v11
	v_subb_co_u32_e32 v7, vcc, v12, v7, vcc
	v_cndmask_b32_e64 v14, v14, v15, s[2:3]
	v_subbrev_co_u32_e64 v8, s[0:1], 0, v8, s[0:1]
	v_cmp_le_u32_e32 vcc, s35, v7
	v_cmp_ne_u32_e64 s[0:1], 0, v14
	v_cndmask_b32_e64 v12, 0, -1, vcc
	v_cmp_le_u32_e32 vcc, s34, v6
	v_cndmask_b32_e64 v8, v13, v8, s[0:1]
	v_cndmask_b32_e64 v13, 0, -1, vcc
	v_cmp_eq_u32_e32 vcc, s35, v7
	v_cndmask_b32_e32 v12, v12, v13, vcc
	v_cmp_ne_u32_e32 vcc, 0, v12
	v_cndmask_b32_e32 v7, v7, v8, vcc
	v_cndmask_b32_e64 v8, v11, v9, s[0:1]
	v_cndmask_b32_e32 v6, v6, v8, vcc
	v_xor_b32_e32 v6, v6, v3
	v_xor_b32_e32 v7, v7, v3
	v_sub_co_u32_e32 v6, vcc, v6, v3
	v_subb_co_u32_e32 v7, vcc, v7, v3, vcc
                                        ; implicit-def: $vgpr8_vgpr9
.LBB0_17:                               ;   in Loop: Header=BB0_3 Depth=1
	s_andn2_saveexec_b64 s[0:1], s[30:31]
	s_cbranch_execz .LBB0_19
; %bb.18:                               ;   in Loop: Header=BB0_3 Depth=1
	v_cvt_f32_u32_e32 v3, s10
	s_sub_i32 s2, 0, s10
	v_mov_b32_e32 v7, v2
	v_rcp_iflag_f32_e32 v3, v3
	v_mul_f32_e32 v3, 0x4f7ffffe, v3
	v_cvt_u32_f32_e32 v3, v3
	v_mul_lo_u32 v6, s2, v3
	v_mul_hi_u32 v6, v3, v6
	v_add_u32_e32 v3, v3, v6
	v_mul_hi_u32 v3, v8, v3
	v_mul_lo_u32 v3, v3, s10
	v_sub_u32_e32 v3, v8, v3
	v_subrev_u32_e32 v6, s10, v3
	v_cmp_le_u32_e32 vcc, s10, v3
	v_cndmask_b32_e32 v3, v3, v6, vcc
	v_subrev_u32_e32 v6, s10, v3
	v_cmp_le_u32_e32 vcc, s10, v3
	v_cndmask_b32_e32 v6, v3, v6, vcc
.LBB0_19:                               ;   in Loop: Header=BB0_3 Depth=1
	s_or_b64 exec, exec, s[0:1]
	v_or_b32_e32 v3, s21, v1
	v_cmp_ne_u64_e32 vcc, 0, v[2:3]
                                        ; implicit-def: $vgpr8_vgpr9
	s_and_saveexec_b64 s[0:1], vcc
	s_xor_b64 s[2:3], exec, s[0:1]
	s_cbranch_execz .LBB0_21
; %bb.20:                               ;   in Loop: Header=BB0_3 Depth=1
	s_ashr_i32 s30, s21, 31
	s_add_u32 s0, s20, s30
	s_mov_b32 s31, s30
	s_addc_u32 s1, s21, s30
	s_xor_b64 s[34:35], s[0:1], s[30:31]
	v_cvt_f32_u32_e32 v3, s34
	v_cvt_f32_u32_e32 v8, s35
	s_sub_u32 s29, 0, s34
	s_subb_u32 s31, 0, s35
	v_mac_f32_e32 v3, 0x4f800000, v8
	v_rcp_f32_e32 v3, v3
	v_mul_f32_e32 v3, 0x5f7ffffc, v3
	v_mul_f32_e32 v8, 0x2f800000, v3
	v_trunc_f32_e32 v8, v8
	v_mac_f32_e32 v3, 0xcf800000, v8
	v_cvt_u32_f32_e32 v8, v8
	v_cvt_u32_f32_e32 v3, v3
	v_readfirstlane_b32 s45, v8
	v_readfirstlane_b32 s0, v3
	s_mul_i32 s1, s29, s45
	s_mul_hi_u32 s47, s29, s0
	s_mul_i32 s46, s31, s0
	s_add_i32 s1, s47, s1
	s_add_i32 s1, s1, s46
	s_mul_i32 s48, s29, s0
	s_mul_i32 s47, s0, s1
	s_mul_hi_u32 s49, s0, s48
	s_mul_hi_u32 s46, s0, s1
	s_add_u32 s47, s49, s47
	s_addc_u32 s46, 0, s46
	s_mul_hi_u32 s50, s45, s48
	s_mul_i32 s48, s45, s48
	s_add_u32 s47, s47, s48
	s_mul_hi_u32 s49, s45, s1
	s_addc_u32 s46, s46, s50
	s_addc_u32 s47, s49, 0
	s_mul_i32 s1, s45, s1
	s_add_u32 s1, s46, s1
	s_addc_u32 s46, 0, s47
	s_add_u32 s47, s0, s1
	s_cselect_b64 s[0:1], -1, 0
	s_cmp_lg_u64 s[0:1], 0
	s_addc_u32 s45, s45, s46
	s_mul_i32 s0, s29, s45
	s_mul_hi_u32 s1, s29, s47
	s_add_i32 s0, s1, s0
	s_mul_i32 s31, s31, s47
	s_add_i32 s0, s0, s31
	s_mul_i32 s29, s29, s47
	s_mul_hi_u32 s31, s45, s29
	s_mul_i32 s46, s45, s29
	s_mul_i32 s49, s47, s0
	s_mul_hi_u32 s29, s47, s29
	s_mul_hi_u32 s48, s47, s0
	s_add_u32 s29, s29, s49
	s_addc_u32 s48, 0, s48
	s_add_u32 s29, s29, s46
	s_mul_hi_u32 s1, s45, s0
	s_addc_u32 s29, s48, s31
	s_addc_u32 s1, s1, 0
	s_mul_i32 s0, s45, s0
	s_add_u32 s0, s29, s0
	s_addc_u32 s29, 0, s1
	s_add_u32 s31, s47, s0
	s_cselect_b64 s[0:1], -1, 0
	s_cmp_lg_u64 s[0:1], 0
	v_add_co_u32_e32 v3, vcc, v0, v10
	s_addc_u32 s29, s45, s29
	v_xor_b32_e32 v3, v3, v10
	v_mad_u64_u32 v[8:9], s[0:1], v3, s29, 0
	v_mul_hi_u32 v12, v3, s31
	v_addc_co_u32_e32 v11, vcc, v1, v10, vcc
	v_xor_b32_e32 v13, v11, v10
	v_add_co_u32_e32 v14, vcc, v12, v8
	v_addc_co_u32_e32 v15, vcc, 0, v9, vcc
	v_mad_u64_u32 v[8:9], s[0:1], v13, s31, 0
	v_mad_u64_u32 v[11:12], s[0:1], v13, s29, 0
	v_add_co_u32_e32 v8, vcc, v14, v8
	v_addc_co_u32_e32 v8, vcc, v15, v9, vcc
	v_addc_co_u32_e32 v9, vcc, 0, v12, vcc
	v_add_co_u32_e32 v11, vcc, v8, v11
	v_addc_co_u32_e32 v12, vcc, 0, v9, vcc
	v_mul_lo_u32 v14, s35, v11
	v_mul_lo_u32 v15, s34, v12
	v_mad_u64_u32 v[8:9], s[0:1], s34, v11, 0
	v_add3_u32 v9, v9, v15, v14
	v_sub_u32_e32 v14, v13, v9
	v_mov_b32_e32 v15, s35
	v_sub_co_u32_e32 v3, vcc, v3, v8
	v_subb_co_u32_e64 v8, s[0:1], v14, v15, vcc
	v_subrev_co_u32_e64 v14, s[0:1], s34, v3
	v_subbrev_co_u32_e64 v8, s[0:1], 0, v8, s[0:1]
	v_cmp_le_u32_e64 s[0:1], s35, v8
	v_cndmask_b32_e64 v15, 0, -1, s[0:1]
	v_cmp_le_u32_e64 s[0:1], s34, v14
	v_cndmask_b32_e64 v14, 0, -1, s[0:1]
	v_cmp_eq_u32_e64 s[0:1], s35, v8
	v_cndmask_b32_e64 v8, v15, v14, s[0:1]
	v_add_co_u32_e64 v14, s[0:1], 2, v11
	v_subb_co_u32_e32 v9, vcc, v13, v9, vcc
	v_addc_co_u32_e64 v15, s[0:1], 0, v12, s[0:1]
	v_cmp_le_u32_e32 vcc, s35, v9
	v_add_co_u32_e64 v16, s[0:1], 1, v11
	v_cndmask_b32_e64 v13, 0, -1, vcc
	v_cmp_le_u32_e32 vcc, s34, v3
	v_addc_co_u32_e64 v17, s[0:1], 0, v12, s[0:1]
	v_cndmask_b32_e64 v3, 0, -1, vcc
	v_cmp_eq_u32_e32 vcc, s35, v9
	v_cmp_ne_u32_e64 s[0:1], 0, v8
	v_cndmask_b32_e32 v3, v13, v3, vcc
	v_cndmask_b32_e64 v8, v17, v15, s[0:1]
	v_cmp_ne_u32_e32 vcc, 0, v3
	v_cndmask_b32_e32 v3, v12, v8, vcc
	v_cndmask_b32_e64 v8, v16, v14, s[0:1]
	v_cndmask_b32_e32 v8, v11, v8, vcc
	v_xor_b32_e32 v9, s30, v10
	v_xor_b32_e32 v8, v8, v9
	;; [unrolled: 1-line block ×3, first 2 shown]
	v_sub_co_u32_e32 v8, vcc, v8, v9
	v_subb_co_u32_e32 v9, vcc, v3, v9, vcc
.LBB0_21:                               ;   in Loop: Header=BB0_3 Depth=1
	s_andn2_saveexec_b64 s[0:1], s[2:3]
	s_cbranch_execz .LBB0_23
; %bb.22:                               ;   in Loop: Header=BB0_3 Depth=1
	v_cvt_f32_u32_e32 v3, s20
	s_sub_i32 s2, 0, s20
	v_rcp_iflag_f32_e32 v3, v3
	v_mul_f32_e32 v3, 0x4f7ffffe, v3
	v_cvt_u32_f32_e32 v3, v3
	v_mul_lo_u32 v8, s2, v3
	v_mul_hi_u32 v8, v3, v8
	v_add_u32_e32 v3, v3, v8
	v_mul_hi_u32 v3, v0, v3
	v_mul_lo_u32 v8, v3, s20
	v_add_u32_e32 v9, 1, v3
	v_sub_u32_e32 v8, v0, v8
	v_subrev_u32_e32 v10, s20, v8
	v_cmp_le_u32_e32 vcc, s20, v8
	v_cndmask_b32_e32 v8, v8, v10, vcc
	v_cndmask_b32_e32 v3, v3, v9, vcc
	v_add_u32_e32 v9, 1, v3
	v_cmp_le_u32_e32 vcc, s20, v8
	v_cndmask_b32_e32 v8, v3, v9, vcc
	v_mov_b32_e32 v9, v2
.LBB0_23:                               ;   in Loop: Header=BB0_3 Depth=1
	s_or_b64 exec, exec, s[0:1]
	v_or_b32_e32 v3, s15, v9
	v_cmp_ne_u64_e32 vcc, 0, v[2:3]
                                        ; implicit-def: $vgpr10_vgpr11
	s_and_saveexec_b64 s[0:1], vcc
	s_xor_b64 s[30:31], exec, s[0:1]
	s_cbranch_execz .LBB0_25
; %bb.24:                               ;   in Loop: Header=BB0_3 Depth=1
	s_ashr_i32 s0, s15, 31
	s_add_u32 s2, s14, s0
	s_mov_b32 s1, s0
	s_addc_u32 s3, s15, s0
	s_xor_b64 s[34:35], s[2:3], s[0:1]
	v_cvt_f32_u32_e32 v3, s34
	v_cvt_f32_u32_e32 v10, s35
	s_sub_u32 s2, 0, s34
	s_subb_u32 s3, 0, s35
	v_mac_f32_e32 v3, 0x4f800000, v10
	v_rcp_f32_e32 v3, v3
	v_mul_f32_e32 v3, 0x5f7ffffc, v3
	v_mul_f32_e32 v10, 0x2f800000, v3
	v_trunc_f32_e32 v10, v10
	v_mac_f32_e32 v3, 0xcf800000, v10
	v_cvt_u32_f32_e32 v10, v10
	v_cvt_u32_f32_e32 v3, v3
	v_readfirstlane_b32 s29, v10
	v_readfirstlane_b32 s0, v3
	s_mul_i32 s1, s2, s29
	s_mul_hi_u32 s46, s2, s0
	s_mul_i32 s45, s3, s0
	s_add_i32 s1, s46, s1
	s_add_i32 s1, s1, s45
	s_mul_i32 s47, s2, s0
	s_mul_i32 s46, s0, s1
	s_mul_hi_u32 s48, s0, s47
	s_mul_hi_u32 s45, s0, s1
	s_add_u32 s46, s48, s46
	s_addc_u32 s45, 0, s45
	s_mul_hi_u32 s49, s29, s47
	s_mul_i32 s47, s29, s47
	s_add_u32 s46, s46, s47
	s_mul_hi_u32 s48, s29, s1
	s_addc_u32 s45, s45, s49
	s_addc_u32 s46, s48, 0
	s_mul_i32 s1, s29, s1
	s_add_u32 s1, s45, s1
	s_addc_u32 s45, 0, s46
	s_add_u32 s46, s0, s1
	s_cselect_b64 s[0:1], -1, 0
	s_cmp_lg_u64 s[0:1], 0
	s_addc_u32 s29, s29, s45
	s_mul_i32 s0, s2, s29
	s_mul_hi_u32 s1, s2, s46
	s_add_i32 s0, s1, s0
	s_mul_i32 s3, s3, s46
	s_add_i32 s0, s0, s3
	s_mul_i32 s2, s2, s46
	s_mul_hi_u32 s3, s29, s2
	s_mul_i32 s45, s29, s2
	s_mul_i32 s48, s46, s0
	s_mul_hi_u32 s2, s46, s2
	s_mul_hi_u32 s47, s46, s0
	s_add_u32 s2, s2, s48
	s_addc_u32 s47, 0, s47
	s_add_u32 s2, s2, s45
	s_mul_hi_u32 s1, s29, s0
	s_addc_u32 s2, s47, s3
	s_addc_u32 s1, s1, 0
	s_mul_i32 s0, s29, s0
	s_add_u32 s0, s2, s0
	s_addc_u32 s2, 0, s1
	s_add_u32 s3, s46, s0
	s_cselect_b64 s[0:1], -1, 0
	v_ashrrev_i32_e32 v3, 31, v9
	s_cmp_lg_u64 s[0:1], 0
	v_add_co_u32_e32 v10, vcc, v8, v3
	s_addc_u32 s2, s29, s2
	v_xor_b32_e32 v14, v10, v3
	v_mad_u64_u32 v[10:11], s[0:1], v14, s2, 0
	v_mul_hi_u32 v13, v14, s3
	v_addc_co_u32_e32 v12, vcc, v9, v3, vcc
	v_xor_b32_e32 v15, v12, v3
	v_add_co_u32_e32 v16, vcc, v13, v10
	v_addc_co_u32_e32 v17, vcc, 0, v11, vcc
	v_mad_u64_u32 v[10:11], s[0:1], v15, s3, 0
	v_mad_u64_u32 v[12:13], s[0:1], v15, s2, 0
	v_add_co_u32_e32 v10, vcc, v16, v10
	v_addc_co_u32_e32 v10, vcc, v17, v11, vcc
	v_addc_co_u32_e32 v11, vcc, 0, v13, vcc
	v_add_co_u32_e32 v10, vcc, v10, v12
	v_addc_co_u32_e32 v11, vcc, 0, v11, vcc
	v_mul_lo_u32 v12, s35, v10
	v_mul_lo_u32 v13, s34, v11
	v_mad_u64_u32 v[10:11], s[0:1], s34, v10, 0
	v_add3_u32 v11, v11, v13, v12
	v_sub_u32_e32 v12, v15, v11
	v_mov_b32_e32 v13, s35
	v_sub_co_u32_e32 v10, vcc, v14, v10
	v_subb_co_u32_e64 v12, s[0:1], v12, v13, vcc
	v_subrev_co_u32_e64 v14, s[0:1], s34, v10
	v_subbrev_co_u32_e64 v16, s[2:3], 0, v12, s[0:1]
	v_cmp_le_u32_e64 s[2:3], s35, v16
	v_cndmask_b32_e64 v17, 0, -1, s[2:3]
	v_cmp_le_u32_e64 s[2:3], s34, v14
	v_subb_co_u32_e64 v12, s[0:1], v12, v13, s[0:1]
	v_cndmask_b32_e64 v20, 0, -1, s[2:3]
	v_cmp_eq_u32_e64 s[2:3], s35, v16
	v_subrev_co_u32_e64 v13, s[0:1], s34, v14
	v_subb_co_u32_e32 v11, vcc, v15, v11, vcc
	v_cndmask_b32_e64 v17, v17, v20, s[2:3]
	v_subbrev_co_u32_e64 v12, s[0:1], 0, v12, s[0:1]
	v_cmp_le_u32_e32 vcc, s35, v11
	v_cmp_ne_u32_e64 s[0:1], 0, v17
	v_cndmask_b32_e64 v15, 0, -1, vcc
	v_cmp_le_u32_e32 vcc, s34, v10
	v_cndmask_b32_e64 v12, v16, v12, s[0:1]
	v_cndmask_b32_e64 v16, 0, -1, vcc
	v_cmp_eq_u32_e32 vcc, s35, v11
	v_cndmask_b32_e32 v15, v15, v16, vcc
	v_cmp_ne_u32_e32 vcc, 0, v15
	v_cndmask_b32_e32 v11, v11, v12, vcc
	v_cndmask_b32_e64 v12, v14, v13, s[0:1]
	v_cndmask_b32_e32 v10, v10, v12, vcc
	v_xor_b32_e32 v10, v10, v3
	v_xor_b32_e32 v11, v11, v3
	v_sub_co_u32_e32 v10, vcc, v10, v3
	v_subb_co_u32_e32 v11, vcc, v11, v3, vcc
.LBB0_25:                               ;   in Loop: Header=BB0_3 Depth=1
	s_andn2_saveexec_b64 s[0:1], s[30:31]
	s_cbranch_execz .LBB0_27
; %bb.26:                               ;   in Loop: Header=BB0_3 Depth=1
	v_cvt_f32_u32_e32 v3, s14
	s_sub_i32 s2, 0, s14
	v_mov_b32_e32 v11, v2
	v_rcp_iflag_f32_e32 v3, v3
	v_mul_f32_e32 v3, 0x4f7ffffe, v3
	v_cvt_u32_f32_e32 v3, v3
	v_mul_lo_u32 v10, s2, v3
	v_mul_hi_u32 v10, v3, v10
	v_add_u32_e32 v3, v3, v10
	v_mul_hi_u32 v3, v8, v3
	v_mul_lo_u32 v3, v3, s14
	v_sub_u32_e32 v3, v8, v3
	v_subrev_u32_e32 v10, s14, v3
	v_cmp_le_u32_e32 vcc, s14, v3
	v_cndmask_b32_e32 v3, v3, v10, vcc
	v_subrev_u32_e32 v10, s14, v3
	v_cmp_le_u32_e32 vcc, s14, v3
	v_cndmask_b32_e32 v10, v3, v10, vcc
.LBB0_27:                               ;   in Loop: Header=BB0_3 Depth=1
	s_or_b64 exec, exec, s[0:1]
	v_mov_b32_e32 v3, s13
	v_subrev_co_u32_e32 v12, vcc, s12, v6
	v_subb_co_u32_e32 v13, vcc, v7, v3, vcc
	v_cmp_lt_i64_e32 vcc, 0, v[12:13]
	v_mov_b32_e32 v3, s41
	v_cndmask_b32_e32 v13, 0, v13, vcc
	v_cndmask_b32_e32 v12, 0, v12, vcc
	v_add_co_u32_e32 v14, vcc, s40, v6
	v_addc_co_u32_e32 v15, vcc, v3, v7, vcc
	v_cmp_gt_i64_e32 vcc, s[10:11], v[14:15]
	v_mov_b32_e32 v3, s11
	v_cndmask_b32_e32 v15, v3, v15, vcc
	v_mov_b32_e32 v3, s10
	v_cndmask_b32_e32 v14, v3, v14, vcc
	v_cmp_lt_i64_e32 vcc, v[12:13], v[14:15]
	v_mov_b32_e32 v3, 0
	s_and_saveexec_b64 s[2:3], vcc
	s_cbranch_execz .LBB0_2
; %bb.28:                               ;   in Loop: Header=BB0_3 Depth=1
	v_mad_u64_u32 v[16:17], s[0:1], s14, v12, v[10:11]
	v_mul_lo_u32 v3, s14, v13
	v_mul_lo_u32 v20, s15, v12
	s_mov_b64 s[30:31], 0
	v_add3_u32 v17, v20, v17, v3
	v_lshlrev_b64 v[16:17], 2, v[16:17]
	v_lshlrev_b64 v[20:21], 2, v[8:9]
	v_sub_co_u32_e32 v3, vcc, v16, v20
	v_subb_co_u32_e32 v16, vcc, v17, v21, vcc
	v_mul_lo_u32 v20, s21, v3
	v_mul_lo_u32 v21, s20, v16
	v_mad_u64_u32 v[16:17], s[0:1], s20, v3, 0
	v_mul_lo_u32 v3, s18, v5
	v_add3_u32 v17, v17, v21, v20
	v_mad_u64_u32 v[16:17], s[0:1], s18, v4, v[16:17]
	v_mul_lo_u32 v20, s19, v4
	v_add3_u32 v3, v20, v17, v3
	v_lshlrev_b64 v[20:21], 2, v[0:1]
	v_mov_b32_e32 v17, s5
	v_add_co_u32_e32 v16, vcc, v16, v20
	v_addc_co_u32_e32 v3, vcc, v3, v21, vcc
	v_add_co_u32_e32 v16, vcc, s4, v16
	v_addc_co_u32_e32 v17, vcc, v17, v3, vcc
	v_mov_b32_e32 v3, 0
.LBB0_29:                               ;   Parent Loop BB0_3 Depth=1
                                        ; =>  This Inner Loop Header: Depth=2
	global_load_dword v20, v[16:17], off
	v_add_co_u32_e32 v12, vcc, 1, v12
	v_addc_co_u32_e32 v13, vcc, 0, v13, vcc
	v_cmp_ge_i64_e64 s[0:1], v[12:13], v[14:15]
	v_mov_b32_e32 v21, s25
	v_add_co_u32_e32 v16, vcc, s24, v16
	v_addc_co_u32_e32 v17, vcc, v17, v21, vcc
	s_or_b64 s[30:31], s[0:1], s[30:31]
	s_waitcnt vmcnt(0)
	v_fmac_f32_e32 v3, v20, v20
	s_andn2_b64 exec, exec, s[30:31]
	s_cbranch_execnz .LBB0_29
; %bb.30:                               ;   in Loop: Header=BB0_3 Depth=1
	s_or_b64 exec, exec, s[30:31]
	s_branch .LBB0_2
.LBB0_31:
	s_endpgm
	.section	.rodata,"a",@progbits
	.p2align	6, 0x0
	.amdhsa_kernel _Z14lrn_fwd_kernelPKfPflllllllllfff
		.amdhsa_group_segment_fixed_size 0
		.amdhsa_private_segment_fixed_size 0
		.amdhsa_kernarg_size 360
		.amdhsa_user_sgpr_count 6
		.amdhsa_user_sgpr_private_segment_buffer 1
		.amdhsa_user_sgpr_dispatch_ptr 0
		.amdhsa_user_sgpr_queue_ptr 0
		.amdhsa_user_sgpr_kernarg_segment_ptr 1
		.amdhsa_user_sgpr_dispatch_id 0
		.amdhsa_user_sgpr_flat_scratch_init 0
		.amdhsa_user_sgpr_private_segment_size 0
		.amdhsa_uses_dynamic_stack 0
		.amdhsa_system_sgpr_private_segment_wavefront_offset 0
		.amdhsa_system_sgpr_workgroup_id_x 1
		.amdhsa_system_sgpr_workgroup_id_y 0
		.amdhsa_system_sgpr_workgroup_id_z 0
		.amdhsa_system_sgpr_workgroup_info 0
		.amdhsa_system_vgpr_workitem_id 0
		.amdhsa_next_free_vgpr 22
		.amdhsa_next_free_sgpr 51
		.amdhsa_reserve_vcc 1
		.amdhsa_reserve_flat_scratch 0
		.amdhsa_float_round_mode_32 0
		.amdhsa_float_round_mode_16_64 0
		.amdhsa_float_denorm_mode_32 3
		.amdhsa_float_denorm_mode_16_64 3
		.amdhsa_dx10_clamp 1
		.amdhsa_ieee_mode 1
		.amdhsa_fp16_overflow 0
		.amdhsa_exception_fp_ieee_invalid_op 0
		.amdhsa_exception_fp_denorm_src 0
		.amdhsa_exception_fp_ieee_div_zero 0
		.amdhsa_exception_fp_ieee_overflow 0
		.amdhsa_exception_fp_ieee_underflow 0
		.amdhsa_exception_fp_ieee_inexact 0
		.amdhsa_exception_int_div_zero 0
	.end_amdhsa_kernel
	.text
.Lfunc_end0:
	.size	_Z14lrn_fwd_kernelPKfPflllllllllfff, .Lfunc_end0-_Z14lrn_fwd_kernelPKfPflllllllllfff
                                        ; -- End function
	.set _Z14lrn_fwd_kernelPKfPflllllllllfff.num_vgpr, 22
	.set _Z14lrn_fwd_kernelPKfPflllllllllfff.num_agpr, 0
	.set _Z14lrn_fwd_kernelPKfPflllllllllfff.numbered_sgpr, 51
	.set _Z14lrn_fwd_kernelPKfPflllllllllfff.num_named_barrier, 0
	.set _Z14lrn_fwd_kernelPKfPflllllllllfff.private_seg_size, 0
	.set _Z14lrn_fwd_kernelPKfPflllllllllfff.uses_vcc, 1
	.set _Z14lrn_fwd_kernelPKfPflllllllllfff.uses_flat_scratch, 0
	.set _Z14lrn_fwd_kernelPKfPflllllllllfff.has_dyn_sized_stack, 0
	.set _Z14lrn_fwd_kernelPKfPflllllllllfff.has_recursion, 0
	.set _Z14lrn_fwd_kernelPKfPflllllllllfff.has_indirect_call, 0
	.section	.AMDGPU.csdata,"",@progbits
; Kernel info:
; codeLenInByte = 5600
; TotalNumSgprs: 55
; NumVgprs: 22
; ScratchSize: 0
; MemoryBound: 0
; FloatMode: 240
; IeeeMode: 1
; LDSByteSize: 0 bytes/workgroup (compile time only)
; SGPRBlocks: 6
; VGPRBlocks: 5
; NumSGPRsForWavesPerEU: 55
; NumVGPRsForWavesPerEU: 22
; Occupancy: 10
; WaveLimiterHint : 1
; COMPUTE_PGM_RSRC2:SCRATCH_EN: 0
; COMPUTE_PGM_RSRC2:USER_SGPR: 6
; COMPUTE_PGM_RSRC2:TRAP_HANDLER: 0
; COMPUTE_PGM_RSRC2:TGID_X_EN: 1
; COMPUTE_PGM_RSRC2:TGID_Y_EN: 0
; COMPUTE_PGM_RSRC2:TGID_Z_EN: 0
; COMPUTE_PGM_RSRC2:TIDIG_COMP_CNT: 0
	.text
	.protected	_Z14lrn_bwd_kernelPKfPfS1_lllllllllfff ; -- Begin function _Z14lrn_bwd_kernelPKfPfS1_lllllllllfff
	.globl	_Z14lrn_bwd_kernelPKfPfS1_lllllllllfff
	.p2align	8
	.type	_Z14lrn_bwd_kernelPKfPfS1_lllllllllfff,@function
_Z14lrn_bwd_kernelPKfPfS1_lllllllllfff: ; @_Z14lrn_bwd_kernelPKfPfS1_lllllllllfff
; %bb.0:
	s_load_dword s2, s[4:5], 0x7c
	s_load_dwordx4 s[16:19], s[4:5], 0x50
	s_add_u32 s0, s4, 0x70
	s_addc_u32 s1, s5, 0
	v_mov_b32_e32 v2, 0
	s_waitcnt lgkmcnt(0)
	s_and_b32 s2, s2, 0xffff
	s_mul_i32 s6, s6, s2
	v_add_u32_e32 v0, s6, v0
	v_mov_b32_e32 v1, v2
	v_cmp_gt_i64_e32 vcc, s[16:17], v[0:1]
	s_and_saveexec_b64 s[6:7], vcc
	s_cbranch_execz .LBB1_35
; %bb.1:
	s_load_dwordx8 s[8:15], s[4:5], 0x18
	s_load_dwordx4 s[20:23], s[4:5], 0x38
	s_load_dwordx4 s[24:27], s[4:5], 0x0
	s_load_dwordx2 s[6:7], s[4:5], 0x10
	s_load_dwordx4 s[28:31], s[4:5], 0x60
	s_mov_b32 s50, 0xf800000
	s_waitcnt lgkmcnt(0)
	s_mul_i32 s3, s14, s21
	s_mul_hi_u32 s4, s14, s20
	s_add_i32 s3, s4, s3
	s_mul_i32 s4, s15, s20
	s_mul_i32 s34, s14, s20
	s_add_i32 s35, s3, s4
	s_load_dword s3, s[0:1], 0x0
	s_mul_i32 s0, s34, s13
	s_mul_hi_u32 s1, s34, s12
	s_add_i32 s0, s1, s0
	s_mul_i32 s1, s35, s12
	s_mul_i32 s33, s34, s12
	s_add_i32 s31, s0, s1
	s_mul_i32 s1, s33, s11
	s_mul_hi_u32 s4, s33, s10
	s_mul_i32 s0, s31, s10
	s_add_i32 s1, s4, s1
	s_add_i32 s44, s1, s0
	s_add_u32 s0, s18, -1
	s_addc_u32 s1, s19, -1
	s_lshr_b32 s4, s1, 31
	s_add_u32 s0, s0, s4
	s_addc_u32 s1, s1, 0
	s_ashr_i64 s[4:5], s[0:1], 1
	s_sub_u32 s45, 0, s4
	s_subb_u32 s46, 0, s5
	s_add_u32 s47, s4, 1
	s_addc_u32 s48, s5, 0
	s_xor_b32 s1, s18, s19
	s_flbit_i32 s0, s19
	s_ashr_i32 s1, s1, 31
	s_add_i32 s0, s0, -1
	s_add_i32 s1, s1, 32
	s_min_u32 s36, s0, s1
	s_lshl_b64 s[0:1], s[18:19], s36
	s_min_u32 s0, s0, 1
	s_or_b32 s0, s1, s0
	v_cvt_f32_i32_e32 v3, s0
	s_sub_i32 s0, 32, s36
	s_mul_i32 s49, s33, s10
	s_mov_b64 s[12:13], 0
	v_ldexp_f32 v30, v3, s0
	v_add_f32_e64 v3, s28, s28
	v_mul_f32_e32 v31, s29, v3
	s_waitcnt lgkmcnt(0)
	s_mul_i32 s29, s3, s2
	s_lshl_b64 s[18:19], s[22:23], 2
	s_lshl_b64 s[34:35], s[34:35], 2
	v_mov_b32_e32 v32, 0x260
	s_ashr_i32 s36, s44, 31
	s_branch .LBB1_4
.LBB1_2:                                ;   in Loop: Header=BB1_4 Depth=1
	s_or_b64 exec, exec, s[38:39]
.LBB1_3:                                ;   in Loop: Header=BB1_4 Depth=1
	s_or_b64 exec, exec, s[2:3]
	v_mad_u64_u32 v[3:4], s[0:1], v6, s14, v[8:9]
	v_mul_lo_u32 v5, v6, s15
	v_mul_lo_u32 v6, v7, s14
	v_mov_b32_e32 v7, s25
	v_add3_u32 v5, v6, v4, v5
	v_mul_lo_u32 v6, v3, s21
	v_mad_u64_u32 v[3:4], s[0:1], v3, s20, 0
	v_mul_lo_u32 v5, v5, s20
	v_add3_u32 v4, v4, v6, v5
	v_lshlrev_b64 v[5:6], 2, v[12:13]
	v_lshlrev_b64 v[3:4], 2, v[3:4]
	v_add_co_u32_e32 v9, vcc, s24, v5
	v_addc_co_u32_e32 v12, vcc, v7, v6, vcc
	v_lshlrev_b64 v[7:8], 2, v[10:11]
	v_mov_b32_e32 v13, s7
	v_add_co_u32_e32 v9, vcc, v9, v7
	v_addc_co_u32_e32 v10, vcc, v12, v8, vcc
	v_add_co_u32_e32 v9, vcc, v9, v3
	v_addc_co_u32_e32 v10, vcc, v10, v4, vcc
	global_load_dword v9, v[9:10], off
	s_waitcnt vmcnt(0)
	v_mul_f32_e32 v9, v31, v9
	v_div_scale_f32 v10, s[0:1], v30, v30, v9
	v_div_scale_f32 v11, vcc, v9, v30, v9
	v_add_co_u32_e64 v5, s[0:1], s6, v5
	v_addc_co_u32_e64 v6, s[0:1], v13, v6, s[0:1]
	v_add_co_u32_e64 v5, s[0:1], v5, v7
	v_addc_co_u32_e64 v6, s[0:1], v6, v8, s[0:1]
	;; [unrolled: 2-line block ×3, first 2 shown]
	v_rcp_f32_e32 v12, v10
	v_fma_f32 v14, -v10, v12, 1.0
	v_fmac_f32_e32 v12, v14, v12
	v_mul_f32_e32 v14, v11, v12
	v_fma_f32 v15, -v10, v14, v11
	v_fmac_f32_e32 v14, v15, v12
	v_fma_f32 v10, -v10, v14, v11
	v_div_fmas_f32 v10, v10, v12, v14
	v_add_co_u32_e32 v0, vcc, s29, v0
	v_addc_co_u32_e32 v1, vcc, 0, v1, vcc
	v_cmp_le_i64_e32 vcc, s[16:17], v[0:1]
	s_or_b64 s[12:13], vcc, s[12:13]
	v_div_fixup_f32 v5, v10, v30, v9
	v_fma_f32 v5, -v34, v5, v33
	global_store_dword v[3:4], v5, off
	s_andn2_b64 exec, exec, s[12:13]
	s_cbranch_execz .LBB1_35
.LBB1_4:                                ; =>This Loop Header: Depth=1
                                        ;     Child Loop BB1_31 Depth 2
                                        ;       Child Loop BB1_33 Depth 3
	v_or_b32_e32 v3, s44, v1
	v_cmp_ne_u64_e32 vcc, 0, v[2:3]
	v_ashrrev_i32_e32 v10, 31, v1
                                        ; implicit-def: $vgpr6_vgpr7
	s_and_saveexec_b64 s[0:1], vcc
	s_xor_b64 s[2:3], exec, s[0:1]
	s_cbranch_execz .LBB1_6
; %bb.5:                                ;   in Loop: Header=BB1_4 Depth=1
	s_add_u32 s0, s49, s36
	s_mov_b32 s37, s36
	s_addc_u32 s1, s44, s36
	s_xor_b64 s[38:39], s[0:1], s[36:37]
	v_cvt_f32_u32_e32 v3, s38
	v_cvt_f32_u32_e32 v4, s39
	s_sub_u32 s37, 0, s38
	s_subb_u32 s40, 0, s39
	v_mac_f32_e32 v3, 0x4f800000, v4
	v_rcp_f32_e32 v3, v3
	v_mul_f32_e32 v3, 0x5f7ffffc, v3
	v_mul_f32_e32 v4, 0x2f800000, v3
	v_trunc_f32_e32 v4, v4
	v_mac_f32_e32 v3, 0xcf800000, v4
	v_cvt_u32_f32_e32 v4, v4
	v_cvt_u32_f32_e32 v3, v3
	v_readfirstlane_b32 s41, v4
	v_readfirstlane_b32 s0, v3
	s_mul_i32 s1, s37, s41
	s_mul_hi_u32 s43, s37, s0
	s_mul_i32 s42, s40, s0
	s_add_i32 s1, s43, s1
	s_add_i32 s1, s1, s42
	s_mul_i32 s51, s37, s0
	s_mul_i32 s43, s0, s1
	s_mul_hi_u32 s52, s0, s51
	s_mul_hi_u32 s42, s0, s1
	s_add_u32 s43, s52, s43
	s_addc_u32 s42, 0, s42
	s_mul_hi_u32 s53, s41, s51
	s_mul_i32 s51, s41, s51
	s_add_u32 s43, s43, s51
	s_mul_hi_u32 s52, s41, s1
	s_addc_u32 s42, s42, s53
	s_addc_u32 s43, s52, 0
	s_mul_i32 s1, s41, s1
	s_add_u32 s1, s42, s1
	s_addc_u32 s42, 0, s43
	s_add_u32 s43, s0, s1
	s_cselect_b64 s[0:1], -1, 0
	s_cmp_lg_u64 s[0:1], 0
	s_addc_u32 s41, s41, s42
	s_mul_i32 s0, s37, s41
	s_mul_hi_u32 s1, s37, s43
	s_add_i32 s0, s1, s0
	s_mul_i32 s40, s40, s43
	s_add_i32 s0, s0, s40
	s_mul_i32 s37, s37, s43
	s_mul_hi_u32 s40, s41, s37
	s_mul_i32 s42, s41, s37
	s_mul_i32 s52, s43, s0
	s_mul_hi_u32 s37, s43, s37
	s_mul_hi_u32 s51, s43, s0
	s_add_u32 s37, s37, s52
	s_addc_u32 s51, 0, s51
	s_add_u32 s37, s37, s42
	s_mul_hi_u32 s1, s41, s0
	s_addc_u32 s37, s51, s40
	s_addc_u32 s1, s1, 0
	s_mul_i32 s0, s41, s0
	s_add_u32 s0, s37, s0
	s_addc_u32 s37, 0, s1
	s_add_u32 s40, s43, s0
	s_cselect_b64 s[0:1], -1, 0
	s_cmp_lg_u64 s[0:1], 0
	v_add_co_u32_e32 v3, vcc, v0, v10
	s_addc_u32 s37, s41, s37
	v_xor_b32_e32 v7, v3, v10
	v_mad_u64_u32 v[3:4], s[0:1], v7, s37, 0
	v_mul_hi_u32 v6, v7, s40
	v_addc_co_u32_e32 v5, vcc, v1, v10, vcc
	v_xor_b32_e32 v8, v5, v10
	v_add_co_u32_e32 v9, vcc, v6, v3
	v_addc_co_u32_e32 v11, vcc, 0, v4, vcc
	v_mad_u64_u32 v[3:4], s[0:1], v8, s40, 0
	v_mad_u64_u32 v[5:6], s[0:1], v8, s37, 0
	v_add_co_u32_e32 v3, vcc, v9, v3
	v_addc_co_u32_e32 v3, vcc, v11, v4, vcc
	v_addc_co_u32_e32 v4, vcc, 0, v6, vcc
	v_add_co_u32_e32 v5, vcc, v3, v5
	v_addc_co_u32_e32 v6, vcc, 0, v4, vcc
	v_mul_lo_u32 v9, s39, v5
	v_mul_lo_u32 v11, s38, v6
	v_mad_u64_u32 v[3:4], s[0:1], s38, v5, 0
	v_add3_u32 v4, v4, v11, v9
	v_sub_u32_e32 v9, v8, v4
	v_mov_b32_e32 v11, s39
	v_sub_co_u32_e32 v3, vcc, v7, v3
	v_subb_co_u32_e64 v7, s[0:1], v9, v11, vcc
	v_subrev_co_u32_e64 v9, s[0:1], s38, v3
	v_subbrev_co_u32_e64 v7, s[0:1], 0, v7, s[0:1]
	v_cmp_le_u32_e64 s[0:1], s39, v7
	v_cndmask_b32_e64 v11, 0, -1, s[0:1]
	v_cmp_le_u32_e64 s[0:1], s38, v9
	v_cndmask_b32_e64 v9, 0, -1, s[0:1]
	v_cmp_eq_u32_e64 s[0:1], s39, v7
	v_cndmask_b32_e64 v7, v11, v9, s[0:1]
	v_add_co_u32_e64 v9, s[0:1], 2, v5
	v_subb_co_u32_e32 v4, vcc, v8, v4, vcc
	v_addc_co_u32_e64 v11, s[0:1], 0, v6, s[0:1]
	v_cmp_le_u32_e32 vcc, s39, v4
	v_add_co_u32_e64 v12, s[0:1], 1, v5
	v_cndmask_b32_e64 v8, 0, -1, vcc
	v_cmp_le_u32_e32 vcc, s38, v3
	v_addc_co_u32_e64 v13, s[0:1], 0, v6, s[0:1]
	v_cndmask_b32_e64 v3, 0, -1, vcc
	v_cmp_eq_u32_e32 vcc, s39, v4
	v_cmp_ne_u32_e64 s[0:1], 0, v7
	v_cndmask_b32_e32 v3, v8, v3, vcc
	v_cmp_ne_u32_e32 vcc, 0, v3
	v_cndmask_b32_e64 v4, v12, v9, s[0:1]
	v_cndmask_b32_e64 v7, v13, v11, s[0:1]
	v_cndmask_b32_e32 v4, v5, v4, vcc
	v_xor_b32_e32 v5, s36, v10
	v_cndmask_b32_e32 v3, v6, v7, vcc
	v_xor_b32_e32 v4, v4, v5
	v_xor_b32_e32 v3, v3, v5
	v_sub_co_u32_e32 v6, vcc, v4, v5
	v_subb_co_u32_e32 v7, vcc, v3, v5, vcc
.LBB1_6:                                ;   in Loop: Header=BB1_4 Depth=1
	s_andn2_saveexec_b64 s[0:1], s[2:3]
	s_cbranch_execz .LBB1_8
; %bb.7:                                ;   in Loop: Header=BB1_4 Depth=1
	v_cvt_f32_u32_e32 v3, s49
	s_sub_i32 s2, 0, s49
	v_mov_b32_e32 v7, v2
	v_rcp_iflag_f32_e32 v3, v3
	v_mul_f32_e32 v3, 0x4f7ffffe, v3
	v_cvt_u32_f32_e32 v3, v3
	v_mul_lo_u32 v4, s2, v3
	v_mul_hi_u32 v4, v3, v4
	v_add_u32_e32 v3, v3, v4
	v_mul_hi_u32 v3, v0, v3
	v_mul_lo_u32 v4, v3, s49
	v_add_u32_e32 v5, 1, v3
	v_sub_u32_e32 v4, v0, v4
	v_subrev_u32_e32 v6, s49, v4
	v_cmp_le_u32_e32 vcc, s49, v4
	v_cndmask_b32_e32 v4, v4, v6, vcc
	v_cndmask_b32_e32 v3, v3, v5, vcc
	v_add_u32_e32 v5, 1, v3
	v_cmp_le_u32_e32 vcc, s49, v4
	v_cndmask_b32_e32 v6, v3, v5, vcc
.LBB1_8:                                ;   in Loop: Header=BB1_4 Depth=1
	s_or_b64 exec, exec, s[0:1]
	v_or_b32_e32 v3, s9, v7
	v_cmp_ne_u64_e32 vcc, 0, v[2:3]
                                        ; implicit-def: $vgpr4_vgpr5
	s_and_saveexec_b64 s[0:1], vcc
	s_xor_b64 s[38:39], exec, s[0:1]
	s_cbranch_execz .LBB1_10
; %bb.9:                                ;   in Loop: Header=BB1_4 Depth=1
	s_ashr_i32 s0, s9, 31
	s_add_u32 s2, s8, s0
	s_mov_b32 s1, s0
	s_addc_u32 s3, s9, s0
	s_xor_b64 s[40:41], s[2:3], s[0:1]
	v_cvt_f32_u32_e32 v3, s40
	v_cvt_f32_u32_e32 v4, s41
	s_sub_u32 s2, 0, s40
	s_subb_u32 s3, 0, s41
	v_ashrrev_i32_e32 v8, 31, v7
	v_mac_f32_e32 v3, 0x4f800000, v4
	v_rcp_f32_e32 v3, v3
	v_mul_f32_e32 v3, 0x5f7ffffc, v3
	v_mul_f32_e32 v4, 0x2f800000, v3
	v_trunc_f32_e32 v4, v4
	v_mac_f32_e32 v3, 0xcf800000, v4
	v_cvt_u32_f32_e32 v4, v4
	v_cvt_u32_f32_e32 v3, v3
	v_readfirstlane_b32 s37, v4
	v_readfirstlane_b32 s0, v3
	s_mul_i32 s1, s2, s37
	s_mul_hi_u32 s43, s2, s0
	s_mul_i32 s42, s3, s0
	s_add_i32 s1, s43, s1
	s_add_i32 s1, s1, s42
	s_mul_i32 s51, s2, s0
	s_mul_i32 s43, s0, s1
	s_mul_hi_u32 s52, s0, s51
	s_mul_hi_u32 s42, s0, s1
	s_add_u32 s43, s52, s43
	s_addc_u32 s42, 0, s42
	s_mul_hi_u32 s53, s37, s51
	s_mul_i32 s51, s37, s51
	s_add_u32 s43, s43, s51
	s_mul_hi_u32 s52, s37, s1
	s_addc_u32 s42, s42, s53
	s_addc_u32 s43, s52, 0
	s_mul_i32 s1, s37, s1
	s_add_u32 s1, s42, s1
	s_addc_u32 s42, 0, s43
	s_add_u32 s43, s0, s1
	s_cselect_b64 s[0:1], -1, 0
	s_cmp_lg_u64 s[0:1], 0
	s_addc_u32 s37, s37, s42
	s_mul_i32 s0, s2, s37
	s_mul_hi_u32 s1, s2, s43
	s_add_i32 s0, s1, s0
	s_mul_i32 s3, s3, s43
	s_add_i32 s0, s0, s3
	s_mul_i32 s2, s2, s43
	s_mul_hi_u32 s3, s37, s2
	s_mul_i32 s42, s37, s2
	s_mul_i32 s52, s43, s0
	s_mul_hi_u32 s2, s43, s2
	s_mul_hi_u32 s51, s43, s0
	s_add_u32 s2, s2, s52
	s_addc_u32 s51, 0, s51
	s_add_u32 s2, s2, s42
	s_mul_hi_u32 s1, s37, s0
	s_addc_u32 s2, s51, s3
	s_addc_u32 s1, s1, 0
	s_mul_i32 s0, s37, s0
	s_add_u32 s0, s2, s0
	s_addc_u32 s2, 0, s1
	s_add_u32 s3, s43, s0
	s_cselect_b64 s[0:1], -1, 0
	s_cmp_lg_u64 s[0:1], 0
	v_add_co_u32_e32 v3, vcc, v6, v8
	s_addc_u32 s2, s37, s2
	v_addc_co_u32_e32 v5, vcc, v7, v8, vcc
	v_xor_b32_e32 v7, v3, v8
	v_mad_u64_u32 v[3:4], s[0:1], v7, s2, 0
	v_mul_hi_u32 v6, v7, s3
	v_xor_b32_e32 v9, v5, v8
	v_add_co_u32_e32 v11, vcc, v6, v3
	v_addc_co_u32_e32 v12, vcc, 0, v4, vcc
	v_mad_u64_u32 v[3:4], s[0:1], v9, s3, 0
	v_mad_u64_u32 v[5:6], s[0:1], v9, s2, 0
	v_add_co_u32_e32 v3, vcc, v11, v3
	v_addc_co_u32_e32 v3, vcc, v12, v4, vcc
	v_addc_co_u32_e32 v4, vcc, 0, v6, vcc
	v_add_co_u32_e32 v3, vcc, v3, v5
	v_addc_co_u32_e32 v4, vcc, 0, v4, vcc
	v_mul_lo_u32 v5, s41, v3
	v_mul_lo_u32 v6, s40, v4
	v_mad_u64_u32 v[3:4], s[0:1], s40, v3, 0
	v_add3_u32 v4, v4, v6, v5
	v_sub_u32_e32 v5, v9, v4
	v_mov_b32_e32 v6, s41
	v_sub_co_u32_e32 v3, vcc, v7, v3
	v_subb_co_u32_e64 v5, s[0:1], v5, v6, vcc
	v_subrev_co_u32_e64 v7, s[0:1], s40, v3
	v_subbrev_co_u32_e64 v11, s[2:3], 0, v5, s[0:1]
	v_cmp_le_u32_e64 s[2:3], s41, v11
	v_cndmask_b32_e64 v12, 0, -1, s[2:3]
	v_cmp_le_u32_e64 s[2:3], s40, v7
	v_subb_co_u32_e64 v5, s[0:1], v5, v6, s[0:1]
	v_cndmask_b32_e64 v13, 0, -1, s[2:3]
	v_cmp_eq_u32_e64 s[2:3], s41, v11
	v_subrev_co_u32_e64 v6, s[0:1], s40, v7
	v_subb_co_u32_e32 v4, vcc, v9, v4, vcc
	v_cndmask_b32_e64 v12, v12, v13, s[2:3]
	v_subbrev_co_u32_e64 v5, s[0:1], 0, v5, s[0:1]
	v_cmp_le_u32_e32 vcc, s41, v4
	v_cmp_ne_u32_e64 s[0:1], 0, v12
	v_cndmask_b32_e64 v9, 0, -1, vcc
	v_cmp_le_u32_e32 vcc, s40, v3
	v_cndmask_b32_e64 v5, v11, v5, s[0:1]
	v_cndmask_b32_e64 v11, 0, -1, vcc
	v_cmp_eq_u32_e32 vcc, s41, v4
	v_cndmask_b32_e32 v9, v9, v11, vcc
	v_cmp_ne_u32_e32 vcc, 0, v9
	v_cndmask_b32_e32 v4, v4, v5, vcc
	v_cndmask_b32_e64 v5, v7, v6, s[0:1]
	v_cndmask_b32_e32 v3, v3, v5, vcc
	v_xor_b32_e32 v3, v3, v8
	v_xor_b32_e32 v5, v4, v8
	v_sub_co_u32_e32 v4, vcc, v3, v8
	v_subb_co_u32_e32 v5, vcc, v5, v8, vcc
                                        ; implicit-def: $vgpr6_vgpr7
.LBB1_10:                               ;   in Loop: Header=BB1_4 Depth=1
	s_andn2_saveexec_b64 s[0:1], s[38:39]
	s_cbranch_execz .LBB1_12
; %bb.11:                               ;   in Loop: Header=BB1_4 Depth=1
	v_cvt_f32_u32_e32 v3, s8
	s_sub_i32 s2, 0, s8
	v_mov_b32_e32 v5, v2
	v_rcp_iflag_f32_e32 v3, v3
	v_mul_f32_e32 v3, 0x4f7ffffe, v3
	v_cvt_u32_f32_e32 v3, v3
	v_mul_lo_u32 v4, s2, v3
	v_mul_hi_u32 v4, v3, v4
	v_add_u32_e32 v3, v3, v4
	v_mul_hi_u32 v3, v6, v3
	v_mul_lo_u32 v3, v3, s8
	v_sub_u32_e32 v3, v6, v3
	v_subrev_u32_e32 v4, s8, v3
	v_cmp_le_u32_e32 vcc, s8, v3
	v_cndmask_b32_e32 v3, v3, v4, vcc
	v_subrev_u32_e32 v4, s8, v3
	v_cmp_le_u32_e32 vcc, s8, v3
	v_cndmask_b32_e32 v4, v3, v4, vcc
.LBB1_12:                               ;   in Loop: Header=BB1_4 Depth=1
	s_or_b64 exec, exec, s[0:1]
	v_or_b32_e32 v3, s31, v1
	v_cmp_ne_u64_e32 vcc, 0, v[2:3]
                                        ; implicit-def: $vgpr8_vgpr9
	s_and_saveexec_b64 s[0:1], vcc
	s_xor_b64 s[2:3], exec, s[0:1]
	s_cbranch_execz .LBB1_14
; %bb.13:                               ;   in Loop: Header=BB1_4 Depth=1
	s_ashr_i32 s38, s31, 31
	s_add_u32 s0, s33, s38
	s_mov_b32 s39, s38
	s_addc_u32 s1, s31, s38
	s_xor_b64 s[40:41], s[0:1], s[38:39]
	v_cvt_f32_u32_e32 v3, s40
	v_cvt_f32_u32_e32 v6, s41
	s_sub_u32 s37, 0, s40
	s_subb_u32 s39, 0, s41
	v_mac_f32_e32 v3, 0x4f800000, v6
	v_rcp_f32_e32 v3, v3
	v_mul_f32_e32 v3, 0x5f7ffffc, v3
	v_mul_f32_e32 v6, 0x2f800000, v3
	v_trunc_f32_e32 v6, v6
	v_mac_f32_e32 v3, 0xcf800000, v6
	v_cvt_u32_f32_e32 v6, v6
	v_cvt_u32_f32_e32 v3, v3
	v_readfirstlane_b32 s42, v6
	v_readfirstlane_b32 s0, v3
	s_mul_i32 s1, s37, s42
	s_mul_hi_u32 s51, s37, s0
	s_mul_i32 s43, s39, s0
	s_add_i32 s1, s51, s1
	s_add_i32 s1, s1, s43
	s_mul_i32 s52, s37, s0
	s_mul_i32 s51, s0, s1
	s_mul_hi_u32 s53, s0, s52
	s_mul_hi_u32 s43, s0, s1
	s_add_u32 s51, s53, s51
	s_addc_u32 s43, 0, s43
	s_mul_hi_u32 s54, s42, s52
	s_mul_i32 s52, s42, s52
	s_add_u32 s51, s51, s52
	s_mul_hi_u32 s53, s42, s1
	s_addc_u32 s43, s43, s54
	s_addc_u32 s51, s53, 0
	s_mul_i32 s1, s42, s1
	s_add_u32 s1, s43, s1
	s_addc_u32 s43, 0, s51
	s_add_u32 s51, s0, s1
	s_cselect_b64 s[0:1], -1, 0
	s_cmp_lg_u64 s[0:1], 0
	s_addc_u32 s42, s42, s43
	s_mul_i32 s0, s37, s42
	s_mul_hi_u32 s1, s37, s51
	s_add_i32 s0, s1, s0
	s_mul_i32 s39, s39, s51
	s_add_i32 s0, s0, s39
	s_mul_i32 s37, s37, s51
	s_mul_hi_u32 s39, s42, s37
	s_mul_i32 s43, s42, s37
	s_mul_i32 s53, s51, s0
	s_mul_hi_u32 s37, s51, s37
	s_mul_hi_u32 s52, s51, s0
	s_add_u32 s37, s37, s53
	s_addc_u32 s52, 0, s52
	s_add_u32 s37, s37, s43
	s_mul_hi_u32 s1, s42, s0
	s_addc_u32 s37, s52, s39
	s_addc_u32 s1, s1, 0
	s_mul_i32 s0, s42, s0
	s_add_u32 s0, s37, s0
	s_addc_u32 s37, 0, s1
	s_add_u32 s39, s51, s0
	s_cselect_b64 s[0:1], -1, 0
	s_cmp_lg_u64 s[0:1], 0
	v_add_co_u32_e32 v3, vcc, v0, v10
	s_addc_u32 s37, s42, s37
	v_xor_b32_e32 v3, v3, v10
	v_mad_u64_u32 v[6:7], s[0:1], v3, s37, 0
	v_mul_hi_u32 v9, v3, s39
	v_addc_co_u32_e32 v8, vcc, v1, v10, vcc
	v_xor_b32_e32 v11, v8, v10
	v_add_co_u32_e32 v12, vcc, v9, v6
	v_addc_co_u32_e32 v13, vcc, 0, v7, vcc
	v_mad_u64_u32 v[6:7], s[0:1], v11, s39, 0
	v_mad_u64_u32 v[8:9], s[0:1], v11, s37, 0
	v_add_co_u32_e32 v6, vcc, v12, v6
	v_addc_co_u32_e32 v6, vcc, v13, v7, vcc
	v_addc_co_u32_e32 v7, vcc, 0, v9, vcc
	v_add_co_u32_e32 v8, vcc, v6, v8
	v_addc_co_u32_e32 v9, vcc, 0, v7, vcc
	v_mul_lo_u32 v12, s41, v8
	v_mul_lo_u32 v13, s40, v9
	v_mad_u64_u32 v[6:7], s[0:1], s40, v8, 0
	v_add3_u32 v7, v7, v13, v12
	v_sub_u32_e32 v12, v11, v7
	v_mov_b32_e32 v13, s41
	v_sub_co_u32_e32 v3, vcc, v3, v6
	v_subb_co_u32_e64 v6, s[0:1], v12, v13, vcc
	v_subrev_co_u32_e64 v12, s[0:1], s40, v3
	v_subbrev_co_u32_e64 v6, s[0:1], 0, v6, s[0:1]
	v_cmp_le_u32_e64 s[0:1], s41, v6
	v_cndmask_b32_e64 v13, 0, -1, s[0:1]
	v_cmp_le_u32_e64 s[0:1], s40, v12
	v_cndmask_b32_e64 v12, 0, -1, s[0:1]
	v_cmp_eq_u32_e64 s[0:1], s41, v6
	v_cndmask_b32_e64 v6, v13, v12, s[0:1]
	v_add_co_u32_e64 v12, s[0:1], 2, v8
	v_subb_co_u32_e32 v7, vcc, v11, v7, vcc
	v_addc_co_u32_e64 v13, s[0:1], 0, v9, s[0:1]
	v_cmp_le_u32_e32 vcc, s41, v7
	v_add_co_u32_e64 v14, s[0:1], 1, v8
	v_cndmask_b32_e64 v11, 0, -1, vcc
	v_cmp_le_u32_e32 vcc, s40, v3
	v_addc_co_u32_e64 v15, s[0:1], 0, v9, s[0:1]
	v_cndmask_b32_e64 v3, 0, -1, vcc
	v_cmp_eq_u32_e32 vcc, s41, v7
	v_cmp_ne_u32_e64 s[0:1], 0, v6
	v_cndmask_b32_e32 v3, v11, v3, vcc
	v_cndmask_b32_e64 v6, v15, v13, s[0:1]
	v_cmp_ne_u32_e32 vcc, 0, v3
	v_cndmask_b32_e32 v3, v9, v6, vcc
	v_cndmask_b32_e64 v6, v14, v12, s[0:1]
	v_cndmask_b32_e32 v6, v8, v6, vcc
	v_xor_b32_e32 v7, s38, v10
	v_xor_b32_e32 v6, v6, v7
	;; [unrolled: 1-line block ×3, first 2 shown]
	v_sub_co_u32_e32 v8, vcc, v6, v7
	v_subb_co_u32_e32 v9, vcc, v3, v7, vcc
.LBB1_14:                               ;   in Loop: Header=BB1_4 Depth=1
	s_andn2_saveexec_b64 s[0:1], s[2:3]
	s_cbranch_execz .LBB1_16
; %bb.15:                               ;   in Loop: Header=BB1_4 Depth=1
	v_cvt_f32_u32_e32 v3, s33
	s_sub_i32 s2, 0, s33
	v_mov_b32_e32 v9, v2
	v_rcp_iflag_f32_e32 v3, v3
	v_mul_f32_e32 v3, 0x4f7ffffe, v3
	v_cvt_u32_f32_e32 v3, v3
	v_mul_lo_u32 v6, s2, v3
	v_mul_hi_u32 v6, v3, v6
	v_add_u32_e32 v3, v3, v6
	v_mul_hi_u32 v3, v0, v3
	v_mul_lo_u32 v6, v3, s33
	v_add_u32_e32 v7, 1, v3
	v_sub_u32_e32 v6, v0, v6
	v_subrev_u32_e32 v8, s33, v6
	v_cmp_le_u32_e32 vcc, s33, v6
	v_cndmask_b32_e32 v6, v6, v8, vcc
	v_cndmask_b32_e32 v3, v3, v7, vcc
	v_add_u32_e32 v7, 1, v3
	v_cmp_le_u32_e32 vcc, s33, v6
	v_cndmask_b32_e32 v8, v3, v7, vcc
.LBB1_16:                               ;   in Loop: Header=BB1_4 Depth=1
	s_or_b64 exec, exec, s[0:1]
	v_or_b32_e32 v3, s11, v9
	v_cmp_ne_u64_e32 vcc, 0, v[2:3]
                                        ; implicit-def: $vgpr6_vgpr7
	s_and_saveexec_b64 s[0:1], vcc
	s_xor_b64 s[38:39], exec, s[0:1]
	s_cbranch_execz .LBB1_18
; %bb.17:                               ;   in Loop: Header=BB1_4 Depth=1
	s_ashr_i32 s0, s11, 31
	s_add_u32 s2, s10, s0
	s_mov_b32 s1, s0
	s_addc_u32 s3, s11, s0
	s_xor_b64 s[40:41], s[2:3], s[0:1]
	v_cvt_f32_u32_e32 v3, s40
	v_cvt_f32_u32_e32 v6, s41
	s_sub_u32 s2, 0, s40
	s_subb_u32 s3, 0, s41
	v_mac_f32_e32 v3, 0x4f800000, v6
	v_rcp_f32_e32 v3, v3
	v_mul_f32_e32 v3, 0x5f7ffffc, v3
	v_mul_f32_e32 v6, 0x2f800000, v3
	v_trunc_f32_e32 v6, v6
	v_mac_f32_e32 v3, 0xcf800000, v6
	v_cvt_u32_f32_e32 v6, v6
	v_cvt_u32_f32_e32 v3, v3
	v_readfirstlane_b32 s37, v6
	v_readfirstlane_b32 s0, v3
	s_mul_i32 s1, s2, s37
	s_mul_hi_u32 s43, s2, s0
	s_mul_i32 s42, s3, s0
	s_add_i32 s1, s43, s1
	s_add_i32 s1, s1, s42
	s_mul_i32 s51, s2, s0
	s_mul_i32 s43, s0, s1
	s_mul_hi_u32 s52, s0, s51
	s_mul_hi_u32 s42, s0, s1
	s_add_u32 s43, s52, s43
	s_addc_u32 s42, 0, s42
	s_mul_hi_u32 s53, s37, s51
	s_mul_i32 s51, s37, s51
	s_add_u32 s43, s43, s51
	s_mul_hi_u32 s52, s37, s1
	s_addc_u32 s42, s42, s53
	s_addc_u32 s43, s52, 0
	s_mul_i32 s1, s37, s1
	s_add_u32 s1, s42, s1
	s_addc_u32 s42, 0, s43
	s_add_u32 s43, s0, s1
	s_cselect_b64 s[0:1], -1, 0
	s_cmp_lg_u64 s[0:1], 0
	s_addc_u32 s37, s37, s42
	s_mul_i32 s0, s2, s37
	s_mul_hi_u32 s1, s2, s43
	s_add_i32 s0, s1, s0
	s_mul_i32 s3, s3, s43
	s_add_i32 s0, s0, s3
	s_mul_i32 s2, s2, s43
	s_mul_hi_u32 s3, s37, s2
	s_mul_i32 s42, s37, s2
	s_mul_i32 s52, s43, s0
	s_mul_hi_u32 s2, s43, s2
	s_mul_hi_u32 s51, s43, s0
	s_add_u32 s2, s2, s52
	s_addc_u32 s51, 0, s51
	s_add_u32 s2, s2, s42
	s_mul_hi_u32 s1, s37, s0
	s_addc_u32 s2, s51, s3
	s_addc_u32 s1, s1, 0
	s_mul_i32 s0, s37, s0
	s_add_u32 s0, s2, s0
	s_addc_u32 s2, 0, s1
	s_add_u32 s3, s43, s0
	s_cselect_b64 s[0:1], -1, 0
	v_ashrrev_i32_e32 v3, 31, v9
	s_cmp_lg_u64 s[0:1], 0
	v_add_co_u32_e32 v6, vcc, v8, v3
	s_addc_u32 s2, s37, s2
	v_xor_b32_e32 v11, v6, v3
	v_addc_co_u32_e32 v8, vcc, v9, v3, vcc
	v_mad_u64_u32 v[6:7], s[0:1], v11, s2, 0
	v_mul_hi_u32 v9, v11, s3
	v_xor_b32_e32 v12, v8, v3
	v_add_co_u32_e32 v13, vcc, v9, v6
	v_addc_co_u32_e32 v14, vcc, 0, v7, vcc
	v_mad_u64_u32 v[6:7], s[0:1], v12, s3, 0
	v_mad_u64_u32 v[8:9], s[0:1], v12, s2, 0
	v_add_co_u32_e32 v6, vcc, v13, v6
	v_addc_co_u32_e32 v6, vcc, v14, v7, vcc
	v_addc_co_u32_e32 v7, vcc, 0, v9, vcc
	v_add_co_u32_e32 v6, vcc, v6, v8
	v_addc_co_u32_e32 v7, vcc, 0, v7, vcc
	v_mul_lo_u32 v8, s41, v6
	v_mul_lo_u32 v9, s40, v7
	v_mad_u64_u32 v[6:7], s[0:1], s40, v6, 0
	v_add3_u32 v7, v7, v9, v8
	v_sub_u32_e32 v8, v12, v7
	v_mov_b32_e32 v9, s41
	v_sub_co_u32_e32 v6, vcc, v11, v6
	v_subb_co_u32_e64 v8, s[0:1], v8, v9, vcc
	v_subrev_co_u32_e64 v11, s[0:1], s40, v6
	v_subbrev_co_u32_e64 v13, s[2:3], 0, v8, s[0:1]
	v_cmp_le_u32_e64 s[2:3], s41, v13
	v_cndmask_b32_e64 v14, 0, -1, s[2:3]
	v_cmp_le_u32_e64 s[2:3], s40, v11
	v_subb_co_u32_e64 v8, s[0:1], v8, v9, s[0:1]
	v_cndmask_b32_e64 v15, 0, -1, s[2:3]
	v_cmp_eq_u32_e64 s[2:3], s41, v13
	v_subrev_co_u32_e64 v9, s[0:1], s40, v11
	v_subb_co_u32_e32 v7, vcc, v12, v7, vcc
	v_cndmask_b32_e64 v14, v14, v15, s[2:3]
	v_subbrev_co_u32_e64 v8, s[0:1], 0, v8, s[0:1]
	v_cmp_le_u32_e32 vcc, s41, v7
	v_cmp_ne_u32_e64 s[0:1], 0, v14
	v_cndmask_b32_e64 v12, 0, -1, vcc
	v_cmp_le_u32_e32 vcc, s40, v6
	v_cndmask_b32_e64 v8, v13, v8, s[0:1]
	v_cndmask_b32_e64 v13, 0, -1, vcc
	v_cmp_eq_u32_e32 vcc, s41, v7
	v_cndmask_b32_e32 v12, v12, v13, vcc
	v_cmp_ne_u32_e32 vcc, 0, v12
	v_cndmask_b32_e32 v7, v7, v8, vcc
	v_cndmask_b32_e64 v8, v11, v9, s[0:1]
	v_cndmask_b32_e32 v6, v6, v8, vcc
	v_xor_b32_e32 v6, v6, v3
	v_xor_b32_e32 v7, v7, v3
	v_sub_co_u32_e32 v6, vcc, v6, v3
	v_subb_co_u32_e32 v7, vcc, v7, v3, vcc
                                        ; implicit-def: $vgpr8_vgpr9
.LBB1_18:                               ;   in Loop: Header=BB1_4 Depth=1
	s_andn2_saveexec_b64 s[0:1], s[38:39]
	s_cbranch_execz .LBB1_20
; %bb.19:                               ;   in Loop: Header=BB1_4 Depth=1
	v_cvt_f32_u32_e32 v3, s10
	s_sub_i32 s2, 0, s10
	v_mov_b32_e32 v7, v2
	v_rcp_iflag_f32_e32 v3, v3
	v_mul_f32_e32 v3, 0x4f7ffffe, v3
	v_cvt_u32_f32_e32 v3, v3
	v_mul_lo_u32 v6, s2, v3
	v_mul_hi_u32 v6, v3, v6
	v_add_u32_e32 v3, v3, v6
	v_mul_hi_u32 v3, v8, v3
	v_mul_lo_u32 v3, v3, s10
	v_sub_u32_e32 v3, v8, v3
	v_subrev_u32_e32 v6, s10, v3
	v_cmp_le_u32_e32 vcc, s10, v3
	v_cndmask_b32_e32 v3, v3, v6, vcc
	v_subrev_u32_e32 v6, s10, v3
	v_cmp_le_u32_e32 vcc, s10, v3
	v_cndmask_b32_e32 v6, v3, v6, vcc
.LBB1_20:                               ;   in Loop: Header=BB1_4 Depth=1
	s_or_b64 exec, exec, s[0:1]
	v_or_b32_e32 v3, s21, v1
	v_cmp_ne_u64_e32 vcc, 0, v[2:3]
                                        ; implicit-def: $vgpr20_vgpr21
	s_and_saveexec_b64 s[0:1], vcc
	s_xor_b64 s[2:3], exec, s[0:1]
	s_cbranch_execz .LBB1_22
; %bb.21:                               ;   in Loop: Header=BB1_4 Depth=1
	s_ashr_i32 s38, s21, 31
	s_add_u32 s0, s20, s38
	s_mov_b32 s39, s38
	s_addc_u32 s1, s21, s38
	s_xor_b64 s[40:41], s[0:1], s[38:39]
	v_cvt_f32_u32_e32 v3, s40
	v_cvt_f32_u32_e32 v8, s41
	s_sub_u32 s37, 0, s40
	s_subb_u32 s39, 0, s41
	v_mac_f32_e32 v3, 0x4f800000, v8
	v_rcp_f32_e32 v3, v3
	v_mul_f32_e32 v3, 0x5f7ffffc, v3
	v_mul_f32_e32 v8, 0x2f800000, v3
	v_trunc_f32_e32 v8, v8
	v_mac_f32_e32 v3, 0xcf800000, v8
	v_cvt_u32_f32_e32 v8, v8
	v_cvt_u32_f32_e32 v3, v3
	v_readfirstlane_b32 s42, v8
	v_readfirstlane_b32 s0, v3
	s_mul_i32 s1, s37, s42
	s_mul_hi_u32 s51, s37, s0
	s_mul_i32 s43, s39, s0
	s_add_i32 s1, s51, s1
	s_add_i32 s1, s1, s43
	s_mul_i32 s52, s37, s0
	s_mul_i32 s51, s0, s1
	s_mul_hi_u32 s53, s0, s52
	s_mul_hi_u32 s43, s0, s1
	s_add_u32 s51, s53, s51
	s_addc_u32 s43, 0, s43
	s_mul_hi_u32 s54, s42, s52
	s_mul_i32 s52, s42, s52
	s_add_u32 s51, s51, s52
	s_mul_hi_u32 s53, s42, s1
	s_addc_u32 s43, s43, s54
	s_addc_u32 s51, s53, 0
	s_mul_i32 s1, s42, s1
	s_add_u32 s1, s43, s1
	s_addc_u32 s43, 0, s51
	s_add_u32 s51, s0, s1
	s_cselect_b64 s[0:1], -1, 0
	s_cmp_lg_u64 s[0:1], 0
	s_addc_u32 s42, s42, s43
	s_mul_i32 s0, s37, s42
	s_mul_hi_u32 s1, s37, s51
	s_add_i32 s0, s1, s0
	s_mul_i32 s39, s39, s51
	s_add_i32 s0, s0, s39
	s_mul_i32 s37, s37, s51
	s_mul_hi_u32 s39, s42, s37
	s_mul_i32 s43, s42, s37
	s_mul_i32 s53, s51, s0
	s_mul_hi_u32 s37, s51, s37
	s_mul_hi_u32 s52, s51, s0
	s_add_u32 s37, s37, s53
	s_addc_u32 s52, 0, s52
	s_add_u32 s37, s37, s43
	s_mul_hi_u32 s1, s42, s0
	s_addc_u32 s37, s52, s39
	s_addc_u32 s1, s1, 0
	s_mul_i32 s0, s42, s0
	s_add_u32 s0, s37, s0
	s_addc_u32 s37, 0, s1
	s_add_u32 s39, s51, s0
	s_cselect_b64 s[0:1], -1, 0
	s_cmp_lg_u64 s[0:1], 0
	v_add_co_u32_e32 v3, vcc, v0, v10
	s_addc_u32 s37, s42, s37
	v_xor_b32_e32 v3, v3, v10
	v_mad_u64_u32 v[8:9], s[0:1], v3, s37, 0
	v_mul_hi_u32 v12, v3, s39
	v_addc_co_u32_e32 v11, vcc, v1, v10, vcc
	v_xor_b32_e32 v13, v11, v10
	v_add_co_u32_e32 v14, vcc, v12, v8
	v_addc_co_u32_e32 v15, vcc, 0, v9, vcc
	v_mad_u64_u32 v[8:9], s[0:1], v13, s39, 0
	v_mad_u64_u32 v[11:12], s[0:1], v13, s37, 0
	v_add_co_u32_e32 v8, vcc, v14, v8
	v_addc_co_u32_e32 v8, vcc, v15, v9, vcc
	v_addc_co_u32_e32 v9, vcc, 0, v12, vcc
	v_add_co_u32_e32 v11, vcc, v8, v11
	v_addc_co_u32_e32 v12, vcc, 0, v9, vcc
	v_mul_lo_u32 v14, s41, v11
	v_mul_lo_u32 v15, s40, v12
	v_mad_u64_u32 v[8:9], s[0:1], s40, v11, 0
	v_add3_u32 v9, v9, v15, v14
	v_sub_u32_e32 v14, v13, v9
	v_mov_b32_e32 v15, s41
	v_sub_co_u32_e32 v3, vcc, v3, v8
	v_subb_co_u32_e64 v8, s[0:1], v14, v15, vcc
	v_subrev_co_u32_e64 v14, s[0:1], s40, v3
	v_subbrev_co_u32_e64 v8, s[0:1], 0, v8, s[0:1]
	v_cmp_le_u32_e64 s[0:1], s41, v8
	v_cndmask_b32_e64 v15, 0, -1, s[0:1]
	v_cmp_le_u32_e64 s[0:1], s40, v14
	v_cndmask_b32_e64 v14, 0, -1, s[0:1]
	v_cmp_eq_u32_e64 s[0:1], s41, v8
	v_cndmask_b32_e64 v8, v15, v14, s[0:1]
	v_add_co_u32_e64 v14, s[0:1], 2, v11
	v_subb_co_u32_e32 v9, vcc, v13, v9, vcc
	v_addc_co_u32_e64 v15, s[0:1], 0, v12, s[0:1]
	v_cmp_le_u32_e32 vcc, s41, v9
	v_add_co_u32_e64 v16, s[0:1], 1, v11
	v_cndmask_b32_e64 v13, 0, -1, vcc
	v_cmp_le_u32_e32 vcc, s40, v3
	v_addc_co_u32_e64 v17, s[0:1], 0, v12, s[0:1]
	v_cndmask_b32_e64 v3, 0, -1, vcc
	v_cmp_eq_u32_e32 vcc, s41, v9
	v_cmp_ne_u32_e64 s[0:1], 0, v8
	v_cndmask_b32_e32 v3, v13, v3, vcc
	v_cndmask_b32_e64 v8, v17, v15, s[0:1]
	v_cmp_ne_u32_e32 vcc, 0, v3
	v_cndmask_b32_e32 v3, v12, v8, vcc
	v_cndmask_b32_e64 v8, v16, v14, s[0:1]
	v_cndmask_b32_e32 v8, v11, v8, vcc
	v_xor_b32_e32 v9, s38, v10
	v_xor_b32_e32 v8, v8, v9
	;; [unrolled: 1-line block ×3, first 2 shown]
	v_sub_co_u32_e32 v20, vcc, v8, v9
	v_subb_co_u32_e32 v21, vcc, v3, v9, vcc
.LBB1_22:                               ;   in Loop: Header=BB1_4 Depth=1
	s_andn2_saveexec_b64 s[0:1], s[2:3]
	s_cbranch_execz .LBB1_24
; %bb.23:                               ;   in Loop: Header=BB1_4 Depth=1
	v_cvt_f32_u32_e32 v3, s20
	s_sub_i32 s2, 0, s20
	v_mov_b32_e32 v21, v2
	v_rcp_iflag_f32_e32 v3, v3
	v_mul_f32_e32 v3, 0x4f7ffffe, v3
	v_cvt_u32_f32_e32 v3, v3
	v_mul_lo_u32 v8, s2, v3
	v_mul_hi_u32 v8, v3, v8
	v_add_u32_e32 v3, v3, v8
	v_mul_hi_u32 v3, v0, v3
	v_mul_lo_u32 v8, v3, s20
	v_add_u32_e32 v9, 1, v3
	v_sub_u32_e32 v8, v0, v8
	v_subrev_u32_e32 v10, s20, v8
	v_cmp_le_u32_e32 vcc, s20, v8
	v_cndmask_b32_e32 v8, v8, v10, vcc
	v_cndmask_b32_e32 v3, v3, v9, vcc
	v_add_u32_e32 v9, 1, v3
	v_cmp_le_u32_e32 vcc, s20, v8
	v_cndmask_b32_e32 v20, v3, v9, vcc
.LBB1_24:                               ;   in Loop: Header=BB1_4 Depth=1
	s_or_b64 exec, exec, s[0:1]
	v_or_b32_e32 v3, s15, v21
	v_cmp_ne_u64_e32 vcc, 0, v[2:3]
                                        ; implicit-def: $vgpr8_vgpr9
	s_and_saveexec_b64 s[0:1], vcc
	s_xor_b64 s[38:39], exec, s[0:1]
	s_cbranch_execz .LBB1_26
; %bb.25:                               ;   in Loop: Header=BB1_4 Depth=1
	s_ashr_i32 s0, s15, 31
	s_add_u32 s2, s14, s0
	s_mov_b32 s1, s0
	s_addc_u32 s3, s15, s0
	s_xor_b64 s[40:41], s[2:3], s[0:1]
	v_cvt_f32_u32_e32 v3, s40
	v_cvt_f32_u32_e32 v8, s41
	s_sub_u32 s2, 0, s40
	s_subb_u32 s3, 0, s41
	v_mac_f32_e32 v3, 0x4f800000, v8
	v_rcp_f32_e32 v3, v3
	v_mul_f32_e32 v3, 0x5f7ffffc, v3
	v_mul_f32_e32 v8, 0x2f800000, v3
	v_trunc_f32_e32 v8, v8
	v_mac_f32_e32 v3, 0xcf800000, v8
	v_cvt_u32_f32_e32 v8, v8
	v_cvt_u32_f32_e32 v3, v3
	v_readfirstlane_b32 s37, v8
	v_readfirstlane_b32 s0, v3
	s_mul_i32 s1, s2, s37
	s_mul_hi_u32 s43, s2, s0
	s_mul_i32 s42, s3, s0
	s_add_i32 s1, s43, s1
	s_add_i32 s1, s1, s42
	s_mul_i32 s51, s2, s0
	s_mul_i32 s43, s0, s1
	s_mul_hi_u32 s52, s0, s51
	s_mul_hi_u32 s42, s0, s1
	s_add_u32 s43, s52, s43
	s_addc_u32 s42, 0, s42
	s_mul_hi_u32 s53, s37, s51
	s_mul_i32 s51, s37, s51
	s_add_u32 s43, s43, s51
	s_mul_hi_u32 s52, s37, s1
	s_addc_u32 s42, s42, s53
	s_addc_u32 s43, s52, 0
	s_mul_i32 s1, s37, s1
	s_add_u32 s1, s42, s1
	s_addc_u32 s42, 0, s43
	s_add_u32 s43, s0, s1
	s_cselect_b64 s[0:1], -1, 0
	s_cmp_lg_u64 s[0:1], 0
	s_addc_u32 s37, s37, s42
	s_mul_i32 s0, s2, s37
	s_mul_hi_u32 s1, s2, s43
	s_add_i32 s0, s1, s0
	s_mul_i32 s3, s3, s43
	s_add_i32 s0, s0, s3
	s_mul_i32 s2, s2, s43
	s_mul_hi_u32 s3, s37, s2
	s_mul_i32 s42, s37, s2
	s_mul_i32 s52, s43, s0
	s_mul_hi_u32 s2, s43, s2
	s_mul_hi_u32 s51, s43, s0
	s_add_u32 s2, s2, s52
	s_addc_u32 s51, 0, s51
	s_add_u32 s2, s2, s42
	s_mul_hi_u32 s1, s37, s0
	s_addc_u32 s2, s51, s3
	s_addc_u32 s1, s1, 0
	s_mul_i32 s0, s37, s0
	s_add_u32 s0, s2, s0
	s_addc_u32 s2, 0, s1
	s_add_u32 s3, s43, s0
	s_cselect_b64 s[0:1], -1, 0
	v_ashrrev_i32_e32 v3, 31, v21
	s_cmp_lg_u64 s[0:1], 0
	v_add_co_u32_e32 v8, vcc, v20, v3
	s_addc_u32 s2, s37, s2
	v_xor_b32_e32 v12, v8, v3
	v_mad_u64_u32 v[8:9], s[0:1], v12, s2, 0
	v_mul_hi_u32 v11, v12, s3
	v_addc_co_u32_e32 v10, vcc, v21, v3, vcc
	v_xor_b32_e32 v13, v10, v3
	v_add_co_u32_e32 v14, vcc, v11, v8
	v_addc_co_u32_e32 v15, vcc, 0, v9, vcc
	v_mad_u64_u32 v[8:9], s[0:1], v13, s3, 0
	v_mad_u64_u32 v[10:11], s[0:1], v13, s2, 0
	v_add_co_u32_e32 v8, vcc, v14, v8
	v_addc_co_u32_e32 v8, vcc, v15, v9, vcc
	v_addc_co_u32_e32 v9, vcc, 0, v11, vcc
	v_add_co_u32_e32 v8, vcc, v8, v10
	v_addc_co_u32_e32 v9, vcc, 0, v9, vcc
	v_mul_lo_u32 v10, s41, v8
	v_mul_lo_u32 v11, s40, v9
	v_mad_u64_u32 v[8:9], s[0:1], s40, v8, 0
	v_add3_u32 v9, v9, v11, v10
	v_sub_u32_e32 v10, v13, v9
	v_mov_b32_e32 v11, s41
	v_sub_co_u32_e32 v8, vcc, v12, v8
	v_subb_co_u32_e64 v10, s[0:1], v10, v11, vcc
	v_subrev_co_u32_e64 v12, s[0:1], s40, v8
	v_subbrev_co_u32_e64 v14, s[2:3], 0, v10, s[0:1]
	v_cmp_le_u32_e64 s[2:3], s41, v14
	v_cndmask_b32_e64 v15, 0, -1, s[2:3]
	v_cmp_le_u32_e64 s[2:3], s40, v12
	v_subb_co_u32_e64 v10, s[0:1], v10, v11, s[0:1]
	v_cndmask_b32_e64 v16, 0, -1, s[2:3]
	v_cmp_eq_u32_e64 s[2:3], s41, v14
	v_subrev_co_u32_e64 v11, s[0:1], s40, v12
	v_subb_co_u32_e32 v9, vcc, v13, v9, vcc
	v_cndmask_b32_e64 v15, v15, v16, s[2:3]
	v_subbrev_co_u32_e64 v10, s[0:1], 0, v10, s[0:1]
	v_cmp_le_u32_e32 vcc, s41, v9
	v_cmp_ne_u32_e64 s[0:1], 0, v15
	v_cndmask_b32_e64 v13, 0, -1, vcc
	v_cmp_le_u32_e32 vcc, s40, v8
	v_cndmask_b32_e64 v10, v14, v10, s[0:1]
	v_cndmask_b32_e64 v14, 0, -1, vcc
	v_cmp_eq_u32_e32 vcc, s41, v9
	v_cndmask_b32_e32 v13, v13, v14, vcc
	v_cmp_ne_u32_e32 vcc, 0, v13
	v_cndmask_b32_e32 v9, v9, v10, vcc
	v_cndmask_b32_e64 v10, v12, v11, s[0:1]
	v_cndmask_b32_e32 v8, v8, v10, vcc
	v_xor_b32_e32 v8, v8, v3
	v_xor_b32_e32 v9, v9, v3
	v_sub_co_u32_e32 v8, vcc, v8, v3
	v_subb_co_u32_e32 v9, vcc, v9, v3, vcc
.LBB1_26:                               ;   in Loop: Header=BB1_4 Depth=1
	s_andn2_saveexec_b64 s[0:1], s[38:39]
	s_cbranch_execz .LBB1_28
; %bb.27:                               ;   in Loop: Header=BB1_4 Depth=1
	v_cvt_f32_u32_e32 v3, s14
	s_sub_i32 s2, 0, s14
	v_mov_b32_e32 v9, v2
	v_rcp_iflag_f32_e32 v3, v3
	v_mul_f32_e32 v3, 0x4f7ffffe, v3
	v_cvt_u32_f32_e32 v3, v3
	v_mul_lo_u32 v8, s2, v3
	v_mul_hi_u32 v8, v3, v8
	v_add_u32_e32 v3, v3, v8
	v_mul_hi_u32 v3, v20, v3
	v_mul_lo_u32 v3, v3, s14
	v_sub_u32_e32 v3, v20, v3
	v_subrev_u32_e32 v8, s14, v3
	v_cmp_le_u32_e32 vcc, s14, v3
	v_cndmask_b32_e32 v3, v3, v8, vcc
	v_subrev_u32_e32 v8, s14, v3
	v_cmp_le_u32_e32 vcc, s14, v3
	v_cndmask_b32_e32 v8, v3, v8, vcc
.LBB1_28:                               ;   in Loop: Header=BB1_4 Depth=1
	s_or_b64 exec, exec, s[0:1]
	v_mul_lo_u32 v3, v21, s20
	v_mul_lo_u32 v12, v20, s21
	v_mad_u64_u32 v[10:11], s[0:1], v20, s20, 0
	v_mul_lo_u32 v18, v4, s23
	v_mov_b32_e32 v33, 0
	v_add3_u32 v3, v11, v12, v3
	v_sub_co_u32_e32 v10, vcc, v0, v10
	v_subb_co_u32_e32 v11, vcc, v1, v3, vcc
	v_mov_b32_e32 v3, s5
	v_subrev_co_u32_e32 v16, vcc, s4, v6
	v_subb_co_u32_e32 v17, vcc, v7, v3, vcc
	v_mov_b32_e32 v3, s48
	v_add_co_u32_e32 v12, vcc, s47, v6
	v_addc_co_u32_e32 v13, vcc, v3, v7, vcc
	v_cmp_gt_i64_e32 vcc, s[10:11], v[12:13]
	v_mov_b32_e32 v3, s11
	v_cndmask_b32_e32 v15, v3, v13, vcc
	v_mov_b32_e32 v3, s10
	v_cndmask_b32_e32 v14, v3, v12, vcc
	v_mul_lo_u32 v3, v5, s22
	v_mad_u64_u32 v[12:13], s[0:1], v4, s22, 0
	v_cmp_lt_i64_e32 vcc, 0, v[16:17]
	v_mov_b32_e32 v34, 0
	v_cndmask_b32_e32 v17, 0, v17, vcc
	v_cndmask_b32_e32 v16, 0, v16, vcc
	v_cmp_lt_i64_e32 vcc, v[16:17], v[14:15]
	v_add3_u32 v13, v13, v18, v3
	s_and_saveexec_b64 s[2:3], vcc
	s_cbranch_execz .LBB1_3
; %bb.29:                               ;   in Loop: Header=BB1_4 Depth=1
	v_lshlrev_b64 v[18:19], 2, v[0:1]
	v_mul_lo_u32 v5, s18, v5
	v_mul_lo_u32 v22, s19, v4
	v_mad_u64_u32 v[18:19], s[0:1], s18, v4, v[18:19]
	v_add_co_u32_e32 v3, vcc, v10, v12
	v_addc_co_u32_e32 v4, vcc, v11, v13, vcc
	v_add3_u32 v5, v22, v19, v5
	v_mov_b32_e32 v19, s25
	v_add_co_u32_e32 v18, vcc, s24, v18
	v_lshlrev_b64 v[20:21], 2, v[20:21]
	v_addc_co_u32_e32 v19, vcc, v19, v5, vcc
	v_sub_co_u32_e32 v5, vcc, 0, v20
	v_subb_co_u32_e32 v35, vcc, 0, v21, vcc
	v_mov_b32_e32 v21, s46
	v_add_co_u32_e32 v20, vcc, s45, v16
	s_mov_b64 s[38:39], 0
	v_addc_co_u32_e32 v21, vcc, v21, v17, vcc
	v_mov_b32_e32 v33, 0
	v_mov_b32_e32 v34, 0
	s_branch .LBB1_31
.LBB1_30:                               ;   in Loop: Header=BB1_31 Depth=2
	s_or_b64 exec, exec, s[40:41]
	v_mul_f32_e32 v28, s28, v28
	v_div_scale_f32 v26, s[0:1], v30, v30, v28
	v_div_scale_f32 v27, vcc, v28, v30, v28
	v_mad_u64_u32 v[24:25], s[0:1], v16, s14, v[8:9]
	v_mul_lo_u32 v29, v16, s15
	v_mul_lo_u32 v36, v17, s14
	v_add3_u32 v29, v36, v25, v29
	v_mul_lo_u32 v36, v24, s21
	v_rcp_f32_e32 v37, v26
	v_fma_f32 v25, -v26, v37, 1.0
	v_fmac_f32_e32 v37, v25, v37
	v_mul_f32_e32 v25, v27, v37
	v_fma_f32 v38, -v26, v25, v27
	v_fmac_f32_e32 v25, v38, v37
	v_fma_f32 v26, -v26, v25, v27
	v_div_fmas_f32 v37, v26, v37, v25
	v_mad_u64_u32 v[24:25], s[0:1], v24, s20, v[3:4]
	v_mul_lo_u32 v26, v29, s20
	v_mov_b32_e32 v27, s27
	v_mov_b32_e32 v29, s25
	v_add3_u32 v25, v26, v25, v36
	v_lshlrev_b64 v[24:25], 2, v[24:25]
	v_add_co_u32_e32 v26, vcc, s26, v24
	v_addc_co_u32_e32 v27, vcc, v27, v25, vcc
	v_add_co_u32_e32 v24, vcc, s24, v24
	v_addc_co_u32_e32 v25, vcc, v29, v25, vcc
	global_load_dword v26, v[26:27], off
	s_nop 0
	global_load_dword v24, v[24:25], off
	v_div_fixup_f32 v28, v37, v30, v28
	v_add_f32_e32 v28, s30, v28
	v_mul_f32_e32 v29, 0x4f800000, v28
	v_cmp_gt_f32_e32 vcc, s50, v28
	v_cndmask_b32_e32 v29, v28, v29, vcc
	v_sqrt_f32_e32 v36, v29
	v_add_u32_e32 v25, -1, v36
	v_add_u32_e32 v27, 1, v36
	v_fma_f32 v37, -v25, v36, v29
	v_fma_f32 v38, -v27, v36, v29
	v_cmp_ge_f32_e64 s[0:1], 0, v37
	v_cndmask_b32_e64 v25, v36, v25, s[0:1]
	v_cmp_lt_f32_e64 s[0:1], 0, v38
	v_cndmask_b32_e64 v25, v25, v27, s[0:1]
	v_mul_f32_e32 v27, 0x37800000, v25
	v_cndmask_b32_e32 v25, v25, v27, vcc
	v_cmp_class_f32_e32 vcc, v29, v32
	v_cndmask_b32_e32 v25, v25, v29, vcc
	v_mul_f32_e32 v25, v28, v25
	v_div_scale_f32 v27, s[0:1], v25, v25, 1.0
	v_div_scale_f32 v29, vcc, 1.0, v25, 1.0
	v_rcp_f32_e32 v36, v27
	v_fma_f32 v37, -v27, v36, 1.0
	v_fmac_f32_e32 v36, v37, v36
	v_mul_f32_e32 v37, v29, v36
	v_fma_f32 v38, -v27, v37, v29
	v_fmac_f32_e32 v37, v38, v36
	v_fma_f32 v27, -v27, v37, v29
	v_div_fmas_f32 v27, v27, v36, v37
	v_div_fixup_f32 v25, v27, v25, 1.0
	v_mul_f32_e32 v27, 0x4f800000, v25
	v_cmp_gt_f32_e32 vcc, s50, v25
	v_cndmask_b32_e32 v25, v25, v27, vcc
	v_sqrt_f32_e32 v27, v25
	v_add_u32_e32 v29, -1, v27
	v_add_u32_e32 v36, 1, v27
	v_fma_f32 v37, -v29, v27, v25
	v_fma_f32 v38, -v36, v27, v25
	v_cmp_ge_f32_e64 s[0:1], 0, v37
	v_cndmask_b32_e64 v27, v27, v29, s[0:1]
	v_cmp_lt_f32_e64 s[0:1], 0, v38
	v_cndmask_b32_e64 v27, v27, v36, s[0:1]
	v_mul_f32_e32 v29, 0x37800000, v27
	v_cndmask_b32_e32 v27, v27, v29, vcc
	v_cmp_class_f32_e32 vcc, v25, v32
	v_cndmask_b32_e32 v25, v27, v25, vcc
	s_waitcnt vmcnt(1)
	v_mul_f32_e32 v25, v26, v25
	s_waitcnt vmcnt(0)
	v_mul_f32_e32 v24, v24, v25
	v_div_scale_f32 v26, s[0:1], v28, v28, v24
	v_div_scale_f32 v27, vcc, v24, v28, v24
	v_add_co_u32_e64 v20, s[0:1], 1, v20
	v_addc_co_u32_e64 v21, s[0:1], 0, v21, s[0:1]
	v_rcp_f32_e32 v29, v26
	v_fma_f32 v36, -v26, v29, 1.0
	v_fmac_f32_e32 v29, v36, v29
	v_mul_f32_e32 v36, v27, v29
	v_fma_f32 v37, -v26, v36, v27
	v_fmac_f32_e32 v36, v37, v29
	v_fma_f32 v26, -v26, v36, v27
	v_div_fmas_f32 v26, v26, v29, v36
	v_cmp_ge_i64_e32 vcc, v[22:23], v[14:15]
	s_or_b64 s[38:39], vcc, s[38:39]
	v_cmp_eq_u64_e32 vcc, v[16:17], v[6:7]
	v_cndmask_b32_e32 v33, v33, v25, vcc
	v_div_fixup_f32 v16, v26, v28, v24
	v_add_f32_e32 v34, v34, v16
	v_mov_b32_e32 v16, v22
	v_mov_b32_e32 v17, v23
	s_andn2_b64 exec, exec, s[38:39]
	s_cbranch_execz .LBB1_2
.LBB1_31:                               ;   Parent Loop BB1_4 Depth=1
                                        ; =>  This Loop Header: Depth=2
                                        ;       Child Loop BB1_33 Depth 3
	v_mov_b32_e32 v27, s5
	v_subrev_co_u32_e32 v22, vcc, s4, v16
	v_subb_co_u32_e32 v23, vcc, v17, v27, vcc
	v_cmp_lt_i64_e32 vcc, 0, v[22:23]
	v_mov_b32_e32 v28, s11
	v_cndmask_b32_e32 v25, 0, v23, vcc
	v_cndmask_b32_e32 v24, 0, v22, vcc
	v_add_co_u32_e32 v22, vcc, 1, v16
	v_addc_co_u32_e32 v23, vcc, 0, v17, vcc
	v_add_co_u32_e32 v26, vcc, s4, v22
	v_addc_co_u32_e32 v27, vcc, v23, v27, vcc
	v_cmp_gt_i64_e32 vcc, s[10:11], v[26:27]
	v_cndmask_b32_e32 v27, v28, v27, vcc
	v_mov_b32_e32 v28, s10
	v_cndmask_b32_e32 v26, v28, v26, vcc
	v_cmp_lt_i64_e32 vcc, v[24:25], v[26:27]
	v_mov_b32_e32 v28, 0
	s_and_saveexec_b64 s[40:41], vcc
	s_cbranch_execz .LBB1_30
; %bb.32:                               ;   in Loop: Header=BB1_31 Depth=2
	v_cmp_lt_i64_e32 vcc, 0, v[20:21]
	s_mov_b64 s[42:43], 0
	v_cndmask_b32_e32 v28, 0, v20, vcc
	v_cndmask_b32_e32 v36, 0, v21, vcc
	v_mul_lo_u32 v37, s15, v28
	v_mad_u64_u32 v[28:29], s[0:1], s14, v28, v[8:9]
	v_mul_lo_u32 v36, s14, v36
	v_add3_u32 v29, v37, v29, v36
	v_lshlrev_b64 v[28:29], 2, v[28:29]
	v_mov_b32_e32 v36, 0
	v_add_co_u32_e32 v28, vcc, v5, v28
	v_addc_co_u32_e32 v29, vcc, v35, v29, vcc
	v_mul_lo_u32 v37, s20, v29
	v_mul_lo_u32 v38, s21, v28
	v_mad_u64_u32 v[28:29], s[0:1], s20, v28, v[18:19]
	v_add3_u32 v29, v38, v29, v37
.LBB1_33:                               ;   Parent Loop BB1_4 Depth=1
                                        ;     Parent Loop BB1_31 Depth=2
                                        ; =>    This Inner Loop Header: Depth=3
	global_load_dword v37, v[28:29], off
	v_cvt_f32_i32_e32 v36, v36
	v_add_co_u32_e32 v24, vcc, 1, v24
	v_addc_co_u32_e32 v25, vcc, 0, v25, vcc
	v_cmp_ge_i64_e64 s[0:1], v[24:25], v[26:27]
	v_mov_b32_e32 v38, s35
	v_add_co_u32_e32 v28, vcc, s34, v28
	s_or_b64 s[42:43], s[0:1], s[42:43]
	v_addc_co_u32_e32 v29, vcc, v29, v38, vcc
	s_waitcnt vmcnt(0)
	v_fmac_f32_e32 v36, v37, v37
	v_cvt_i32_f32_e32 v36, v36
	s_andn2_b64 exec, exec, s[42:43]
	s_cbranch_execnz .LBB1_33
; %bb.34:                               ;   in Loop: Header=BB1_31 Depth=2
	s_or_b64 exec, exec, s[42:43]
	v_cvt_f32_i32_e32 v28, v36
	s_branch .LBB1_30
.LBB1_35:
	s_endpgm
	.section	.rodata,"a",@progbits
	.p2align	6, 0x0
	.amdhsa_kernel _Z14lrn_bwd_kernelPKfPfS1_lllllllllfff
		.amdhsa_group_segment_fixed_size 0
		.amdhsa_private_segment_fixed_size 0
		.amdhsa_kernarg_size 368
		.amdhsa_user_sgpr_count 6
		.amdhsa_user_sgpr_private_segment_buffer 1
		.amdhsa_user_sgpr_dispatch_ptr 0
		.amdhsa_user_sgpr_queue_ptr 0
		.amdhsa_user_sgpr_kernarg_segment_ptr 1
		.amdhsa_user_sgpr_dispatch_id 0
		.amdhsa_user_sgpr_flat_scratch_init 0
		.amdhsa_user_sgpr_private_segment_size 0
		.amdhsa_uses_dynamic_stack 0
		.amdhsa_system_sgpr_private_segment_wavefront_offset 0
		.amdhsa_system_sgpr_workgroup_id_x 1
		.amdhsa_system_sgpr_workgroup_id_y 0
		.amdhsa_system_sgpr_workgroup_id_z 0
		.amdhsa_system_sgpr_workgroup_info 0
		.amdhsa_system_vgpr_workitem_id 0
		.amdhsa_next_free_vgpr 39
		.amdhsa_next_free_sgpr 55
		.amdhsa_reserve_vcc 1
		.amdhsa_reserve_flat_scratch 0
		.amdhsa_float_round_mode_32 0
		.amdhsa_float_round_mode_16_64 0
		.amdhsa_float_denorm_mode_32 3
		.amdhsa_float_denorm_mode_16_64 3
		.amdhsa_dx10_clamp 1
		.amdhsa_ieee_mode 1
		.amdhsa_fp16_overflow 0
		.amdhsa_exception_fp_ieee_invalid_op 0
		.amdhsa_exception_fp_denorm_src 0
		.amdhsa_exception_fp_ieee_div_zero 0
		.amdhsa_exception_fp_ieee_overflow 0
		.amdhsa_exception_fp_ieee_underflow 0
		.amdhsa_exception_fp_ieee_inexact 0
		.amdhsa_exception_int_div_zero 0
	.end_amdhsa_kernel
	.text
.Lfunc_end1:
	.size	_Z14lrn_bwd_kernelPKfPfS1_lllllllllfff, .Lfunc_end1-_Z14lrn_bwd_kernelPKfPfS1_lllllllllfff
                                        ; -- End function
	.set _Z14lrn_bwd_kernelPKfPfS1_lllllllllfff.num_vgpr, 39
	.set _Z14lrn_bwd_kernelPKfPfS1_lllllllllfff.num_agpr, 0
	.set _Z14lrn_bwd_kernelPKfPfS1_lllllllllfff.numbered_sgpr, 55
	.set _Z14lrn_bwd_kernelPKfPfS1_lllllllllfff.num_named_barrier, 0
	.set _Z14lrn_bwd_kernelPKfPfS1_lllllllllfff.private_seg_size, 0
	.set _Z14lrn_bwd_kernelPKfPfS1_lllllllllfff.uses_vcc, 1
	.set _Z14lrn_bwd_kernelPKfPfS1_lllllllllfff.uses_flat_scratch, 0
	.set _Z14lrn_bwd_kernelPKfPfS1_lllllllllfff.has_dyn_sized_stack, 0
	.set _Z14lrn_bwd_kernelPKfPfS1_lllllllllfff.has_recursion, 0
	.set _Z14lrn_bwd_kernelPKfPfS1_lllllllllfff.has_indirect_call, 0
	.section	.AMDGPU.csdata,"",@progbits
; Kernel info:
; codeLenInByte = 6104
; TotalNumSgprs: 59
; NumVgprs: 39
; ScratchSize: 0
; MemoryBound: 0
; FloatMode: 240
; IeeeMode: 1
; LDSByteSize: 0 bytes/workgroup (compile time only)
; SGPRBlocks: 7
; VGPRBlocks: 9
; NumSGPRsForWavesPerEU: 59
; NumVGPRsForWavesPerEU: 39
; Occupancy: 6
; WaveLimiterHint : 1
; COMPUTE_PGM_RSRC2:SCRATCH_EN: 0
; COMPUTE_PGM_RSRC2:USER_SGPR: 6
; COMPUTE_PGM_RSRC2:TRAP_HANDLER: 0
; COMPUTE_PGM_RSRC2:TGID_X_EN: 1
; COMPUTE_PGM_RSRC2:TGID_Y_EN: 0
; COMPUTE_PGM_RSRC2:TGID_Z_EN: 0
; COMPUTE_PGM_RSRC2:TIDIG_COMP_CNT: 0
	.section	.AMDGPU.gpr_maximums,"",@progbits
	.set amdgpu.max_num_vgpr, 0
	.set amdgpu.max_num_agpr, 0
	.set amdgpu.max_num_sgpr, 0
	.section	.AMDGPU.csdata,"",@progbits
	.type	__hip_cuid_687e8850ba1129b8,@object ; @__hip_cuid_687e8850ba1129b8
	.section	.bss,"aw",@nobits
	.globl	__hip_cuid_687e8850ba1129b8
__hip_cuid_687e8850ba1129b8:
	.byte	0                               ; 0x0
	.size	__hip_cuid_687e8850ba1129b8, 1

	.ident	"AMD clang version 22.0.0git (https://github.com/RadeonOpenCompute/llvm-project roc-7.2.4 26084 f58b06dce1f9c15707c5f808fd002e18c2accf7e)"
	.section	".note.GNU-stack","",@progbits
	.addrsig
	.addrsig_sym __hip_cuid_687e8850ba1129b8
	.amdgpu_metadata
---
amdhsa.kernels:
  - .args:
      - .actual_access:  read_only
        .address_space:  global
        .offset:         0
        .size:           8
        .value_kind:     global_buffer
      - .actual_access:  write_only
        .address_space:  global
        .offset:         8
        .size:           8
        .value_kind:     global_buffer
      - .offset:         16
        .size:           8
        .value_kind:     by_value
      - .offset:         24
        .size:           8
        .value_kind:     by_value
      - .offset:         32
        .size:           8
        .value_kind:     by_value
      - .offset:         40
        .size:           8
        .value_kind:     by_value
      - .offset:         48
        .size:           8
        .value_kind:     by_value
      - .offset:         56
        .size:           8
        .value_kind:     by_value
      - .offset:         64
        .size:           8
        .value_kind:     by_value
      - .offset:         72
        .size:           8
        .value_kind:     by_value
      - .offset:         80
        .size:           8
        .value_kind:     by_value
      - .offset:         88
        .size:           4
        .value_kind:     by_value
      - .offset:         92
        .size:           4
        .value_kind:     by_value
      - .offset:         96
        .size:           4
        .value_kind:     by_value
      - .offset:         104
        .size:           4
        .value_kind:     hidden_block_count_x
      - .offset:         108
        .size:           4
        .value_kind:     hidden_block_count_y
      - .offset:         112
        .size:           4
        .value_kind:     hidden_block_count_z
      - .offset:         116
        .size:           2
        .value_kind:     hidden_group_size_x
      - .offset:         118
        .size:           2
        .value_kind:     hidden_group_size_y
      - .offset:         120
        .size:           2
        .value_kind:     hidden_group_size_z
      - .offset:         122
        .size:           2
        .value_kind:     hidden_remainder_x
      - .offset:         124
        .size:           2
        .value_kind:     hidden_remainder_y
      - .offset:         126
        .size:           2
        .value_kind:     hidden_remainder_z
      - .offset:         144
        .size:           8
        .value_kind:     hidden_global_offset_x
      - .offset:         152
        .size:           8
        .value_kind:     hidden_global_offset_y
      - .offset:         160
        .size:           8
        .value_kind:     hidden_global_offset_z
      - .offset:         168
        .size:           2
        .value_kind:     hidden_grid_dims
    .group_segment_fixed_size: 0
    .kernarg_segment_align: 8
    .kernarg_segment_size: 360
    .language:       OpenCL C
    .language_version:
      - 2
      - 0
    .max_flat_workgroup_size: 1024
    .name:           _Z14lrn_fwd_kernelPKfPflllllllllfff
    .private_segment_fixed_size: 0
    .sgpr_count:     55
    .sgpr_spill_count: 0
    .symbol:         _Z14lrn_fwd_kernelPKfPflllllllllfff.kd
    .uniform_work_group_size: 1
    .uses_dynamic_stack: false
    .vgpr_count:     22
    .vgpr_spill_count: 0
    .wavefront_size: 64
  - .args:
      - .actual_access:  read_only
        .address_space:  global
        .offset:         0
        .size:           8
        .value_kind:     global_buffer
      - .actual_access:  read_only
        .address_space:  global
        .offset:         8
        .size:           8
        .value_kind:     global_buffer
      - .actual_access:  write_only
        .address_space:  global
        .offset:         16
        .size:           8
        .value_kind:     global_buffer
      - .offset:         24
        .size:           8
        .value_kind:     by_value
      - .offset:         32
        .size:           8
        .value_kind:     by_value
      - .offset:         40
        .size:           8
        .value_kind:     by_value
      - .offset:         48
        .size:           8
        .value_kind:     by_value
      - .offset:         56
        .size:           8
        .value_kind:     by_value
      - .offset:         64
        .size:           8
        .value_kind:     by_value
      - .offset:         72
        .size:           8
        .value_kind:     by_value
      - .offset:         80
        .size:           8
        .value_kind:     by_value
      - .offset:         88
        .size:           8
        .value_kind:     by_value
      - .offset:         96
        .size:           4
        .value_kind:     by_value
      - .offset:         100
        .size:           4
        .value_kind:     by_value
      - .offset:         104
        .size:           4
        .value_kind:     by_value
      - .offset:         112
        .size:           4
        .value_kind:     hidden_block_count_x
      - .offset:         116
        .size:           4
        .value_kind:     hidden_block_count_y
      - .offset:         120
        .size:           4
        .value_kind:     hidden_block_count_z
      - .offset:         124
        .size:           2
        .value_kind:     hidden_group_size_x
      - .offset:         126
        .size:           2
        .value_kind:     hidden_group_size_y
      - .offset:         128
        .size:           2
        .value_kind:     hidden_group_size_z
      - .offset:         130
        .size:           2
        .value_kind:     hidden_remainder_x
      - .offset:         132
        .size:           2
        .value_kind:     hidden_remainder_y
      - .offset:         134
        .size:           2
        .value_kind:     hidden_remainder_z
      - .offset:         152
        .size:           8
        .value_kind:     hidden_global_offset_x
      - .offset:         160
        .size:           8
        .value_kind:     hidden_global_offset_y
      - .offset:         168
        .size:           8
        .value_kind:     hidden_global_offset_z
      - .offset:         176
        .size:           2
        .value_kind:     hidden_grid_dims
    .group_segment_fixed_size: 0
    .kernarg_segment_align: 8
    .kernarg_segment_size: 368
    .language:       OpenCL C
    .language_version:
      - 2
      - 0
    .max_flat_workgroup_size: 1024
    .name:           _Z14lrn_bwd_kernelPKfPfS1_lllllllllfff
    .private_segment_fixed_size: 0
    .sgpr_count:     59
    .sgpr_spill_count: 0
    .symbol:         _Z14lrn_bwd_kernelPKfPfS1_lllllllllfff.kd
    .uniform_work_group_size: 1
    .uses_dynamic_stack: false
    .vgpr_count:     39
    .vgpr_spill_count: 0
    .wavefront_size: 64
amdhsa.target:   amdgcn-amd-amdhsa--gfx906
amdhsa.version:
  - 1
  - 2
...

	.end_amdgpu_metadata
